;; amdgpu-corpus repo=ROCm/rocFFT kind=compiled arch=gfx950 opt=O3
	.text
	.amdgcn_target "amdgcn-amd-amdhsa--gfx950"
	.amdhsa_code_object_version 6
	.protected	fft_rtc_fwd_len544_factors_17_2_16_wgs_102_tpt_34_halfLds_dp_op_CI_CI_unitstride_sbrr_R2C_dirReg ; -- Begin function fft_rtc_fwd_len544_factors_17_2_16_wgs_102_tpt_34_halfLds_dp_op_CI_CI_unitstride_sbrr_R2C_dirReg
	.globl	fft_rtc_fwd_len544_factors_17_2_16_wgs_102_tpt_34_halfLds_dp_op_CI_CI_unitstride_sbrr_R2C_dirReg
	.p2align	8
	.type	fft_rtc_fwd_len544_factors_17_2_16_wgs_102_tpt_34_halfLds_dp_op_CI_CI_unitstride_sbrr_R2C_dirReg,@function
fft_rtc_fwd_len544_factors_17_2_16_wgs_102_tpt_34_halfLds_dp_op_CI_CI_unitstride_sbrr_R2C_dirReg: ; @fft_rtc_fwd_len544_factors_17_2_16_wgs_102_tpt_34_halfLds_dp_op_CI_CI_unitstride_sbrr_R2C_dirReg
; %bb.0:
	s_load_dwordx4 s[4:7], s[0:1], 0x58
	s_load_dwordx4 s[8:11], s[0:1], 0x0
	;; [unrolled: 1-line block ×3, first 2 shown]
	v_mul_u32_u24_e32 v1, 0x788, v0
	v_lshrrev_b32_e32 v2, 16, v1
	v_mad_u64_u32 v[4:5], s[2:3], s2, 3, v[2:3]
	v_mov_b32_e32 v6, 0
	v_mov_b32_e32 v5, v6
	s_waitcnt lgkmcnt(0)
	v_cmp_lt_u64_e64 s[2:3], s[10:11], 2
	v_mov_b64_e32 v[2:3], 0
	s_and_b64 vcc, exec, s[2:3]
	v_mov_b64_e32 v[68:69], v[2:3]
	v_mov_b64_e32 v[72:73], v[4:5]
	s_cbranch_vccnz .LBB0_8
; %bb.1:
	s_load_dwordx2 s[2:3], s[0:1], 0x10
	s_add_u32 s16, s14, 8
	s_addc_u32 s17, s15, 0
	s_add_u32 s18, s12, 8
	s_addc_u32 s19, s13, 0
	s_waitcnt lgkmcnt(0)
	s_add_u32 s20, s2, 8
	v_mov_b64_e32 v[2:3], 0
	s_addc_u32 s21, s3, 0
	s_mov_b64 s[22:23], 1
	v_mov_b64_e32 v[68:69], v[2:3]
	v_mov_b64_e32 v[8:9], v[4:5]
.LBB0_2:                                ; =>This Inner Loop Header: Depth=1
	s_load_dwordx2 s[24:25], s[20:21], 0x0
                                        ; implicit-def: $vgpr72_vgpr73
	s_waitcnt lgkmcnt(0)
	v_or_b32_e32 v7, s25, v9
	v_cmp_ne_u64_e32 vcc, 0, v[6:7]
	s_and_saveexec_b64 s[2:3], vcc
	s_xor_b64 s[26:27], exec, s[2:3]
	s_cbranch_execz .LBB0_4
; %bb.3:                                ;   in Loop: Header=BB0_2 Depth=1
	v_cvt_f32_u32_e32 v1, s24
	v_cvt_f32_u32_e32 v5, s25
	s_sub_u32 s2, 0, s24
	s_subb_u32 s3, 0, s25
	v_fmac_f32_e32 v1, 0x4f800000, v5
	v_rcp_f32_e32 v1, v1
	s_nop 0
	v_mul_f32_e32 v1, 0x5f7ffffc, v1
	v_mul_f32_e32 v5, 0x2f800000, v1
	v_trunc_f32_e32 v5, v5
	v_fmac_f32_e32 v1, 0xcf800000, v5
	v_cvt_u32_f32_e32 v5, v5
	v_cvt_u32_f32_e32 v1, v1
	v_mul_lo_u32 v7, s2, v5
	v_mul_hi_u32 v10, s2, v1
	v_mul_lo_u32 v11, s3, v1
	v_add_u32_e32 v7, v10, v7
	v_mul_lo_u32 v14, s2, v1
	v_add_u32_e32 v7, v7, v11
	v_mul_hi_u32 v10, v1, v14
	v_mul_hi_u32 v13, v1, v7
	v_mul_lo_u32 v12, v1, v7
	v_mov_b32_e32 v11, v6
	v_lshl_add_u64 v[10:11], v[10:11], 0, v[12:13]
	v_mul_hi_u32 v13, v5, v14
	v_mul_lo_u32 v14, v5, v14
	v_add_co_u32_e32 v10, vcc, v10, v14
	v_mul_hi_u32 v12, v5, v7
	s_nop 0
	v_addc_co_u32_e32 v10, vcc, v11, v13, vcc
	v_mov_b32_e32 v11, v6
	s_nop 0
	v_addc_co_u32_e32 v13, vcc, 0, v12, vcc
	v_mul_lo_u32 v12, v5, v7
	v_lshl_add_u64 v[10:11], v[10:11], 0, v[12:13]
	v_add_co_u32_e32 v1, vcc, v1, v10
	v_mul_hi_u32 v10, s2, v1
	s_nop 0
	v_addc_co_u32_e32 v5, vcc, v5, v11, vcc
	v_mul_lo_u32 v7, s2, v5
	v_add_u32_e32 v7, v10, v7
	v_mul_lo_u32 v10, s3, v1
	v_add_u32_e32 v7, v7, v10
	v_mul_lo_u32 v12, s2, v1
	v_mul_hi_u32 v15, v5, v12
	v_mul_lo_u32 v16, v5, v12
	v_mul_hi_u32 v11, v1, v7
	;; [unrolled: 2-line block ×3, first 2 shown]
	v_mov_b32_e32 v13, v6
	v_lshl_add_u64 v[10:11], v[12:13], 0, v[10:11]
	v_add_co_u32_e32 v10, vcc, v10, v16
	v_mul_hi_u32 v14, v5, v7
	s_nop 0
	v_addc_co_u32_e32 v10, vcc, v11, v15, vcc
	v_mul_lo_u32 v12, v5, v7
	s_nop 0
	v_addc_co_u32_e32 v13, vcc, 0, v14, vcc
	v_mov_b32_e32 v11, v6
	v_lshl_add_u64 v[10:11], v[10:11], 0, v[12:13]
	v_add_co_u32_e32 v1, vcc, v1, v10
	v_mul_hi_u32 v12, v8, v1
	s_nop 0
	v_addc_co_u32_e32 v5, vcc, v5, v11, vcc
	v_mad_u64_u32 v[10:11], s[2:3], v8, v5, 0
	v_mov_b32_e32 v13, v6
	v_lshl_add_u64 v[10:11], v[12:13], 0, v[10:11]
	v_mad_u64_u32 v[14:15], s[2:3], v9, v1, 0
	v_add_co_u32_e32 v1, vcc, v10, v14
	v_mad_u64_u32 v[12:13], s[2:3], v9, v5, 0
	s_nop 0
	v_addc_co_u32_e32 v10, vcc, v11, v15, vcc
	v_mov_b32_e32 v11, v6
	s_nop 0
	v_addc_co_u32_e32 v13, vcc, 0, v13, vcc
	v_lshl_add_u64 v[10:11], v[10:11], 0, v[12:13]
	v_mul_lo_u32 v1, s25, v10
	v_mul_lo_u32 v5, s24, v11
	v_mad_u64_u32 v[12:13], s[2:3], s24, v10, 0
	v_add3_u32 v1, v13, v5, v1
	v_sub_u32_e32 v5, v9, v1
	v_mov_b32_e32 v7, s25
	v_sub_co_u32_e32 v16, vcc, v8, v12
	v_lshl_add_u64 v[14:15], v[10:11], 0, 1
	s_nop 0
	v_subb_co_u32_e64 v5, s[2:3], v5, v7, vcc
	v_subrev_co_u32_e64 v7, s[2:3], s24, v16
	v_subb_co_u32_e32 v1, vcc, v9, v1, vcc
	s_nop 0
	v_subbrev_co_u32_e64 v5, s[2:3], 0, v5, s[2:3]
	v_cmp_le_u32_e64 s[2:3], s25, v5
	v_cmp_le_u32_e32 vcc, s25, v1
	s_nop 0
	v_cndmask_b32_e64 v12, 0, -1, s[2:3]
	v_cmp_le_u32_e64 s[2:3], s24, v7
	s_nop 1
	v_cndmask_b32_e64 v7, 0, -1, s[2:3]
	v_cmp_eq_u32_e64 s[2:3], s25, v5
	s_nop 1
	v_cndmask_b32_e64 v5, v12, v7, s[2:3]
	v_lshl_add_u64 v[12:13], v[10:11], 0, 2
	v_cmp_ne_u32_e64 s[2:3], 0, v5
	v_cndmask_b32_e64 v7, 0, -1, vcc
	v_cmp_le_u32_e32 vcc, s24, v16
	v_cndmask_b32_e64 v5, v15, v13, s[2:3]
	s_nop 0
	v_cndmask_b32_e64 v13, 0, -1, vcc
	v_cmp_eq_u32_e32 vcc, s25, v1
	s_nop 1
	v_cndmask_b32_e32 v1, v7, v13, vcc
	v_cmp_ne_u32_e32 vcc, 0, v1
	v_cndmask_b32_e64 v1, v14, v12, s[2:3]
	s_nop 0
	v_cndmask_b32_e32 v73, v11, v5, vcc
	v_cndmask_b32_e32 v72, v10, v1, vcc
.LBB0_4:                                ;   in Loop: Header=BB0_2 Depth=1
	s_andn2_saveexec_b64 s[2:3], s[26:27]
	s_cbranch_execz .LBB0_6
; %bb.5:                                ;   in Loop: Header=BB0_2 Depth=1
	v_cvt_f32_u32_e32 v1, s24
	s_sub_i32 s26, 0, s24
	v_mov_b32_e32 v73, v6
	v_rcp_iflag_f32_e32 v1, v1
	s_nop 0
	v_mul_f32_e32 v1, 0x4f7ffffe, v1
	v_cvt_u32_f32_e32 v1, v1
	v_mul_lo_u32 v5, s26, v1
	v_mul_hi_u32 v5, v1, v5
	v_add_u32_e32 v1, v1, v5
	v_mul_hi_u32 v1, v8, v1
	v_mul_lo_u32 v5, v1, s24
	v_sub_u32_e32 v5, v8, v5
	v_add_u32_e32 v7, 1, v1
	v_subrev_u32_e32 v10, s24, v5
	v_cmp_le_u32_e32 vcc, s24, v5
	s_nop 1
	v_cndmask_b32_e32 v5, v5, v10, vcc
	v_cndmask_b32_e32 v1, v1, v7, vcc
	v_add_u32_e32 v7, 1, v1
	v_cmp_le_u32_e32 vcc, s24, v5
	s_nop 1
	v_cndmask_b32_e32 v72, v1, v7, vcc
.LBB0_6:                                ;   in Loop: Header=BB0_2 Depth=1
	s_or_b64 exec, exec, s[2:3]
	v_mad_u64_u32 v[10:11], s[2:3], v72, s24, 0
	s_load_dwordx2 s[2:3], s[18:19], 0x0
	s_add_u32 s22, s22, 1
	v_mul_lo_u32 v1, v73, s24
	v_mul_lo_u32 v5, v72, s25
	s_load_dwordx2 s[24:25], s[16:17], 0x0
	s_addc_u32 s23, s23, 0
	v_add3_u32 v1, v11, v5, v1
	v_sub_co_u32_e32 v5, vcc, v8, v10
	s_add_u32 s16, s16, 8
	s_nop 0
	v_subb_co_u32_e32 v1, vcc, v9, v1, vcc
	s_addc_u32 s17, s17, 0
	s_waitcnt lgkmcnt(0)
	v_mul_lo_u32 v7, s2, v1
	v_mul_lo_u32 v8, s3, v5
	v_mad_u64_u32 v[2:3], s[2:3], s2, v5, v[2:3]
	s_add_u32 s18, s18, 8
	v_add3_u32 v3, v8, v3, v7
	s_addc_u32 s19, s19, 0
	v_mov_b64_e32 v[8:9], s[10:11]
	v_mul_lo_u32 v1, s24, v1
	v_mul_lo_u32 v7, s25, v5
	v_mad_u64_u32 v[68:69], s[2:3], s24, v5, v[68:69]
	s_add_u32 s20, s20, 8
	v_cmp_ge_u64_e32 vcc, s[22:23], v[8:9]
	v_add3_u32 v69, v7, v69, v1
	s_addc_u32 s21, s21, 0
	s_cbranch_vccnz .LBB0_8
; %bb.7:                                ;   in Loop: Header=BB0_2 Depth=1
	v_mov_b64_e32 v[8:9], v[72:73]
	s_branch .LBB0_2
.LBB0_8:
	s_load_dwordx2 s[0:1], s[0:1], 0x28
	s_lshl_b64 s[16:17], s[10:11], 3
	s_mov_b32 s10, 0xaaaaaaab
	v_mul_hi_u32 v1, v4, s10
	v_lshrrev_b32_e32 v1, 1, v1
	s_add_u32 s2, s14, s16
	v_lshl_add_u32 v1, v1, 1, v1
	s_addc_u32 s3, s15, s17
	v_sub_u32_e32 v1, v4, v1
	s_waitcnt lgkmcnt(0)
	v_cmp_gt_u64_e32 vcc, s[0:1], v[72:73]
	v_cmp_le_u64_e64 s[0:1], s[0:1], v[72:73]
                                        ; implicit-def: $vgpr70
	s_and_saveexec_b64 s[10:11], s[0:1]
	s_xor_b64 s[0:1], exec, s[10:11]
; %bb.9:
	s_mov_b32 s10, 0x7878788
	v_mul_hi_u32 v2, v0, s10
	v_mul_u32_u24_e32 v2, 34, v2
	v_sub_u32_e32 v70, v0, v2
                                        ; implicit-def: $vgpr0
                                        ; implicit-def: $vgpr2_vgpr3
; %bb.10:
	s_or_saveexec_b64 s[10:11], s[0:1]
	v_mul_u32_u24_e32 v1, 0x221, v1
	v_lshlrev_b32_e32 v125, 4, v1
	s_xor_b64 exec, exec, s[10:11]
	s_cbranch_execz .LBB0_12
; %bb.11:
	s_add_u32 s0, s12, s16
	s_addc_u32 s1, s13, s17
	s_load_dwordx2 s[0:1], s[0:1], 0x0
	s_mov_b32 s12, 0x7878788
	v_mov_b32_e32 v65, 0
	s_waitcnt lgkmcnt(0)
	v_mul_lo_u32 v1, s1, v72
	v_mul_lo_u32 v6, s0, v73
	v_mad_u64_u32 v[4:5], s[0:1], s0, v72, 0
	v_add3_u32 v5, v5, v6, v1
	v_mul_hi_u32 v1, v0, s12
	v_mul_u32_u24_e32 v1, 34, v1
	v_sub_u32_e32 v70, v0, v1
	v_lshl_add_u64 v[0:1], v[4:5], 4, s[4:5]
	v_lshl_add_u64 v[0:1], v[2:3], 4, v[0:1]
	v_lshlrev_b32_e32 v64, 4, v70
	v_lshl_add_u64 v[32:33], v[0:1], 0, v[64:65]
	s_movk_i32 s0, 0x1000
	v_add_co_u32_e64 v66, s[0:1], s0, v32
	global_load_dwordx4 v[0:3], v[32:33], off
	global_load_dwordx4 v[4:7], v[32:33], off offset:544
	v_addc_co_u32_e64 v67, s[0:1], 0, v33, s[0:1]
	global_load_dwordx4 v[8:11], v[32:33], off offset:1088
	global_load_dwordx4 v[12:15], v[32:33], off offset:1632
	;; [unrolled: 1-line block ×6, first 2 shown]
	s_nop 0
	global_load_dwordx4 v[32:35], v[66:67], off offset:256
	global_load_dwordx4 v[36:39], v[66:67], off offset:800
	;; [unrolled: 1-line block ×8, first 2 shown]
	v_add3_u32 v64, 0, v125, v64
	s_waitcnt vmcnt(15)
	ds_write_b128 v64, v[0:3]
	s_waitcnt vmcnt(14)
	ds_write_b128 v64, v[4:7] offset:544
	s_waitcnt vmcnt(13)
	ds_write_b128 v64, v[8:11] offset:1088
	;; [unrolled: 2-line block ×15, first 2 shown]
.LBB0_12:
	s_or_b64 exec, exec, s[10:11]
	v_add_u32_e32 v122, 0, v125
	v_lshlrev_b32_e32 v71, 4, v70
	v_add_u32_e32 v123, v122, v71
	s_waitcnt lgkmcnt(0)
	s_barrier
	v_add3_u32 v124, 0, v71, v125
	ds_read_b128 v[0:3], v123
	ds_read_b128 v[4:7], v124 offset:512
	ds_read_b128 v[8:11], v124 offset:1024
	;; [unrolled: 1-line block ×16, first 2 shown]
	v_cmp_gt_u32_e64 s[0:1], 32, v70
	s_waitcnt lgkmcnt(0)
	s_barrier
	s_and_saveexec_b64 s[4:5], s[0:1]
	s_cbranch_execz .LBB0_14
; %bb.13:
	v_add_f64 v[74:75], v[2:3], v[6:7]
	v_add_f64 v[74:75], v[74:75], v[10:11]
	;; [unrolled: 1-line block ×17, first 2 shown]
	v_add_f64 v[66:67], v[66:67], -v[62:63]
	v_add_f64 v[62:63], v[78:79], v[62:63]
	v_add_f64 v[78:79], v[80:81], v[60:61]
	v_add_f64 v[74:75], v[64:65], -v[60:61]
	v_add_f64 v[64:65], v[64:65], v[60:61]
	v_add_f64 v[60:61], v[52:53], -v[56:57]
	v_add_f64 v[52:53], v[52:53], v[56:57]
	v_add_f64 v[56:57], v[78:79], v[56:57]
	;; [unrolled: 1-line block ×3, first 2 shown]
	v_add_f64 v[86:87], v[54:55], -v[58:59]
	v_add_f64 v[58:59], v[62:63], v[58:59]
	v_add_f64 v[102:103], v[46:47], v[50:51]
	v_add_f64 v[92:93], v[46:47], -v[50:51]
	v_add_f64 v[46:47], v[56:57], v[48:49]
	v_add_f64 v[62:63], v[44:45], -v[48:49]
	v_add_f64 v[54:55], v[44:45], v[48:49]
	v_add_f64 v[44:45], v[58:59], v[50:51]
	v_add_f64 v[106:107], v[34:35], v[42:43]
	v_add_f64 v[96:97], v[34:35], -v[42:43]
	v_add_f64 v[34:35], v[46:47], v[40:41]
	v_add_f64 v[80:81], v[32:33], -v[40:41]
	v_add_f64 v[56:57], v[32:33], v[40:41]
	;; [unrolled: 6-line block ×3, first 2 shown]
	v_add_f64 v[24:25], v[32:33], v[38:39]
	v_add_f64 v[116:117], v[18:19], v[30:31]
	v_add_f64 v[108:109], v[18:19], -v[30:31]
	v_add_f64 v[18:19], v[26:27], v[28:29]
	s_mov_b32 s0, 0x7faef3
	v_add_f64 v[88:89], v[16:17], -v[28:29]
	v_add_f64 v[78:79], v[16:17], v[28:29]
	v_add_f64 v[16:17], v[24:25], v[30:31]
	;; [unrolled: 1-line block ×3, first 2 shown]
	v_add_f64 v[112:113], v[10:11], -v[22:23]
	v_add_f64 v[10:11], v[18:19], v[20:21]
	v_add_f64 v[120:121], v[6:7], v[14:15]
	s_mov_b32 s14, 0x370991
	s_mov_b32 s1, 0xbfef7484
	;; [unrolled: 1-line block ×3, first 2 shown]
	v_add_f64 v[90:91], v[8:9], -v[20:21]
	v_add_f64 v[82:83], v[8:9], v[20:21]
	v_add_f64 v[8:9], v[16:17], v[22:23]
	v_add_f64 v[98:99], v[4:5], -v[12:13]
	v_add_f64 v[100:101], v[4:5], v[12:13]
	v_add_f64 v[4:5], v[10:11], v[12:13]
	s_mov_b32 s15, 0x3fedd6d0
	s_mov_b32 s18, 0x5d8e7cdc
	;; [unrolled: 1-line block ×3, first 2 shown]
	v_mul_f64 v[12:13], v[120:121], s[0:1]
	s_mov_b32 s12, 0x910ea3b9
	v_add_f64 v[114:115], v[6:7], -v[14:15]
	v_add_f64 v[6:7], v[8:9], v[14:15]
	s_mov_b32 s19, 0xbfd71e95
	v_fma_f64 v[8:9], s[24:25], v[98:99], v[12:13]
	v_mul_f64 v[14:15], v[118:119], s[14:15]
	s_mov_b32 s13, 0xbfeb34fa
	s_mov_b32 s34, 0x4363dd80
	s_mov_b32 s10, 0x75d4884
	v_add_f64 v[8:9], v[2:3], v[8:9]
	v_fma_f64 v[10:11], s[18:19], v[90:91], v[14:15]
	s_mov_b32 s35, 0x3fe0d888
	v_mul_f64 v[16:17], v[116:117], s[12:13]
	s_mov_b32 s11, 0x3fe7a5f6
	s_mov_b32 s22, 0x2a9d6da3
	s_mov_b32 s16, 0x6ed5f1bb
	v_add_f64 v[8:9], v[10:11], v[8:9]
	v_fma_f64 v[10:11], s[34:35], v[88:89], v[16:17]
	s_mov_b32 s23, 0xbfe58eea
	;; [unrolled: 7-line block ×4, first 2 shown]
	v_mul_f64 v[22:23], v[102:103], s[20:21]
	s_mov_b32 s27, 0xbfd183b1
	s_mov_b32 s48, 0x923c349f
	v_add_f64 v[8:9], v[10:11], v[8:9]
	v_fma_f64 v[10:11], s[28:29], v[62:63], v[22:23]
	s_mov_b32 s49, 0x3feec746
	v_mul_f64 v[24:25], v[94:95], s[26:27]
	s_mov_b32 s31, 0xbfc7851a
	s_mov_b32 s30, s24
	v_add_f64 v[8:9], v[10:11], v[8:9]
	v_fma_f64 v[10:11], s[48:49], v[60:61], v[24:25]
	s_mov_b32 s51, 0x3fd71e95
	s_mov_b32 s50, s18
	v_mul_f64 v[26:27], v[114:115], s[30:31]
	v_add_f64 v[8:9], v[10:11], v[8:9]
	v_fma_f64 v[10:11], s[0:1], v[100:101], v[26:27]
	v_mul_f64 v[28:29], v[112:113], s[50:51]
	v_add_f64 v[10:11], v[0:1], v[10:11]
	v_fma_f64 v[30:31], s[14:15], v[82:83], v[28:29]
	s_mov_b32 s37, 0xbfe0d888
	s_mov_b32 s36, s34
	v_add_f64 v[10:11], v[30:31], v[10:11]
	v_mul_f64 v[30:31], v[108:109], s[36:37]
	v_fma_f64 v[32:33], s[12:13], v[78:79], v[30:31]
	s_mov_b32 s53, 0x3fe58eea
	s_mov_b32 s52, s22
	v_fmac_f64_e32 v[12:13], s[30:31], v[98:99]
	v_add_f64 v[10:11], v[32:33], v[10:11]
	v_mul_f64 v[32:33], v[104:105], s[52:53]
	v_fmac_f64_e32 v[14:15], s[50:51], v[90:91]
	v_add_f64 v[12:13], v[2:3], v[12:13]
	v_fma_f64 v[34:35], s[10:11], v[58:59], v[32:33]
	s_mov_b32 s41, 0xbfe9895b
	s_mov_b32 s40, s42
	v_add_f64 v[12:13], v[14:15], v[12:13]
	v_fmac_f64_e32 v[16:17], s[36:37], v[88:89]
	v_add_f64 v[10:11], v[34:35], v[10:11]
	v_mul_f64 v[34:35], v[96:97], s[40:41]
	v_add_f64 v[12:13], v[16:17], v[12:13]
	v_fma_f64 v[16:17], v[100:101], s[0:1], -v[26:27]
	v_fma_f64 v[36:37], s[16:17], v[56:57], v[34:35]
	s_mov_b32 s55, 0x3feca52d
	s_mov_b32 s54, s28
	v_fma_f64 v[14:15], v[82:83], s[14:15], -v[28:29]
	v_add_f64 v[16:17], v[0:1], v[16:17]
	v_add_f64 v[10:11], v[36:37], v[10:11]
	v_mul_f64 v[36:37], v[92:93], s[54:55]
	v_fmac_f64_e32 v[18:19], s[52:53], v[84:85]
	v_add_f64 v[14:15], v[14:15], v[16:17]
	v_fma_f64 v[16:17], v[78:79], s[12:13], -v[30:31]
	v_fma_f64 v[38:39], s[20:21], v[54:55], v[36:37]
	s_mov_b32 s45, 0xbfeec746
	s_mov_b32 s44, s48
	;; [unrolled: 1-line block ×3, first 2 shown]
	v_add_f64 v[12:13], v[18:19], v[12:13]
	v_fmac_f64_e32 v[20:21], s[40:41], v[80:81]
	v_add_f64 v[14:15], v[16:17], v[14:15]
	v_fma_f64 v[16:17], v[58:59], s[10:11], -v[32:33]
	v_add_f64 v[10:11], v[38:39], v[10:11]
	v_mul_f64 v[38:39], v[86:87], s[44:45]
	s_mov_b32 s39, 0x3fb79ee6
	s_mov_b32 s46, 0xeb564b22
	v_add_f64 v[12:13], v[20:21], v[12:13]
	v_fmac_f64_e32 v[22:23], s[54:55], v[62:63]
	v_add_f64 v[14:15], v[16:17], v[14:15]
	v_fma_f64 v[16:17], v[56:57], s[16:17], -v[34:35]
	v_fma_f64 v[40:41], s[26:27], v[52:53], v[38:39]
	s_mov_b32 s47, 0xbfefdd0d
	v_mul_f64 v[42:43], v[76:77], s[38:39]
	s_mov_b32 s57, 0x3fefdd0d
	s_mov_b32 s56, s46
	v_add_f64 v[12:13], v[22:23], v[12:13]
	v_fmac_f64_e32 v[24:25], s[44:45], v[60:61]
	v_add_f64 v[14:15], v[16:17], v[14:15]
	v_fma_f64 v[16:17], v[54:55], s[20:21], -v[36:37]
	v_add_f64 v[40:41], v[40:41], v[10:11]
	v_fma_f64 v[10:11], s[46:47], v[74:75], v[42:43]
	v_mul_f64 v[44:45], v[66:67], s[56:57]
	v_add_f64 v[12:13], v[24:25], v[12:13]
	v_add_f64 v[14:15], v[16:17], v[14:15]
	v_fma_f64 v[16:17], v[52:53], s[26:27], -v[38:39]
	v_fmac_f64_e32 v[42:43], s[56:57], v[74:75]
	v_add_f64 v[16:17], v[16:17], v[14:15]
	v_add_f64 v[14:15], v[42:43], v[12:13]
	v_fma_f64 v[12:13], v[64:65], s[38:39], -v[44:45]
	v_mul_f64 v[20:21], v[120:121], s[12:13]
	v_add_f64 v[12:13], v[12:13], v[16:17]
	v_fma_f64 v[16:17], s[34:35], v[98:99], v[20:21]
	v_mul_f64 v[22:23], v[118:119], s[20:21]
	v_add_f64 v[16:17], v[2:3], v[16:17]
	v_fma_f64 v[18:19], s[28:29], v[90:91], v[22:23]
	;; [unrolled: 3-line block ×9, first 2 shown]
	v_add_f64 v[10:11], v[10:11], v[8:9]
	v_fma_f64 v[8:9], s[38:39], v[64:65], v[44:45]
	v_add_f64 v[18:19], v[38:39], v[18:19]
	v_mul_f64 v[38:39], v[108:109], s[46:47]
	v_add_f64 v[8:9], v[8:9], v[40:41]
	v_fma_f64 v[40:41], s[38:39], v[78:79], v[38:39]
	v_fmac_f64_e32 v[20:21], s[36:37], v[98:99]
	v_add_f64 v[18:19], v[40:41], v[18:19]
	v_mul_f64 v[40:41], v[104:105], s[42:43]
	v_fmac_f64_e32 v[22:23], s[54:55], v[90:91]
	v_add_f64 v[20:21], v[2:3], v[20:21]
	v_fma_f64 v[42:43], s[16:17], v[58:59], v[40:41]
	v_add_f64 v[20:21], v[22:23], v[20:21]
	v_fmac_f64_e32 v[24:25], s[46:47], v[88:89]
	v_add_f64 v[18:19], v[42:43], v[18:19]
	v_mul_f64 v[42:43], v[96:97], s[18:19]
	v_add_f64 v[20:21], v[24:25], v[20:21]
	v_fma_f64 v[24:25], v[100:101], s[12:13], -v[34:35]
	v_fma_f64 v[44:45], s[14:15], v[56:57], v[42:43]
	v_fma_f64 v[22:23], v[82:83], s[20:21], -v[36:37]
	v_add_f64 v[24:25], v[0:1], v[24:25]
	v_add_f64 v[18:19], v[44:45], v[18:19]
	v_mul_f64 v[44:45], v[92:93], s[30:31]
	v_fmac_f64_e32 v[26:27], s[42:43], v[84:85]
	v_add_f64 v[22:23], v[22:23], v[24:25]
	v_fma_f64 v[24:25], v[78:79], s[38:39], -v[38:39]
	v_fma_f64 v[46:47], s[0:1], v[54:55], v[44:45]
	v_add_f64 v[20:21], v[26:27], v[20:21]
	v_fmac_f64_e32 v[28:29], s[18:19], v[80:81]
	v_add_f64 v[22:23], v[24:25], v[22:23]
	v_fma_f64 v[24:25], v[58:59], s[16:17], -v[40:41]
	v_add_f64 v[18:19], v[46:47], v[18:19]
	v_mul_f64 v[46:47], v[86:87], s[52:53]
	v_add_f64 v[20:21], v[28:29], v[20:21]
	v_fmac_f64_e32 v[30:31], s[30:31], v[62:63]
	v_add_f64 v[22:23], v[24:25], v[22:23]
	v_fma_f64 v[24:25], v[56:57], s[14:15], -v[42:43]
	v_fma_f64 v[48:49], s[10:11], v[52:53], v[46:47]
	v_mul_f64 v[50:51], v[76:77], s[26:27]
	v_add_f64 v[20:21], v[30:31], v[20:21]
	v_fmac_f64_e32 v[32:33], s[52:53], v[60:61]
	v_add_f64 v[22:23], v[24:25], v[22:23]
	v_fma_f64 v[24:25], v[54:55], s[0:1], -v[44:45]
	v_add_f64 v[48:49], v[48:49], v[18:19]
	v_fma_f64 v[18:19], s[48:49], v[74:75], v[50:51]
	v_mul_f64 v[126:127], v[66:67], s[44:45]
	v_add_f64 v[20:21], v[32:33], v[20:21]
	v_add_f64 v[22:23], v[24:25], v[22:23]
	v_fma_f64 v[24:25], v[52:53], s[10:11], -v[46:47]
	v_fmac_f64_e32 v[50:51], s[44:45], v[74:75]
	v_add_f64 v[24:25], v[24:25], v[22:23]
	v_add_f64 v[22:23], v[50:51], v[20:21]
	v_fma_f64 v[20:21], v[64:65], s[26:27], -v[126:127]
	v_mul_f64 v[28:29], v[120:121], s[16:17]
	v_add_f64 v[20:21], v[20:21], v[24:25]
	v_fma_f64 v[24:25], s[42:43], v[98:99], v[28:29]
	v_mul_f64 v[30:31], v[118:119], s[26:27]
	v_add_f64 v[24:25], v[2:3], v[24:25]
	v_fma_f64 v[26:27], s[44:45], v[90:91], v[30:31]
	;; [unrolled: 3-line block ×9, first 2 shown]
	v_add_f64 v[18:19], v[18:19], v[16:17]
	v_fma_f64 v[16:17], s[26:27], v[64:65], v[126:127]
	v_add_f64 v[26:27], v[46:47], v[26:27]
	v_mul_f64 v[46:47], v[108:109], s[18:19]
	v_add_f64 v[16:17], v[16:17], v[48:49]
	v_fma_f64 v[48:49], s[14:15], v[78:79], v[46:47]
	v_fmac_f64_e32 v[28:29], s[40:41], v[98:99]
	v_add_f64 v[26:27], v[48:49], v[26:27]
	v_mul_f64 v[48:49], v[104:105], s[36:37]
	v_fmac_f64_e32 v[30:31], s[48:49], v[90:91]
	v_add_f64 v[28:29], v[2:3], v[28:29]
	v_fma_f64 v[50:51], s[12:13], v[58:59], v[48:49]
	v_add_f64 v[28:29], v[30:31], v[28:29]
	v_fmac_f64_e32 v[32:33], s[18:19], v[88:89]
	v_add_f64 v[26:27], v[50:51], v[26:27]
	v_mul_f64 v[50:51], v[96:97], s[56:57]
	v_add_f64 v[28:29], v[32:33], v[28:29]
	v_fma_f64 v[32:33], v[100:101], s[16:17], -v[42:43]
	v_fma_f64 v[126:127], s[38:39], v[56:57], v[50:51]
	v_fma_f64 v[30:31], v[82:83], s[26:27], -v[44:45]
	v_add_f64 v[32:33], v[0:1], v[32:33]
	v_add_f64 v[26:27], v[126:127], v[26:27]
	v_mul_f64 v[126:127], v[92:93], s[22:23]
	v_fmac_f64_e32 v[34:35], s[36:37], v[84:85]
	v_add_f64 v[30:31], v[30:31], v[32:33]
	v_fma_f64 v[32:33], v[78:79], s[14:15], -v[46:47]
	v_fma_f64 v[128:129], s[10:11], v[54:55], v[126:127]
	v_add_f64 v[28:29], v[34:35], v[28:29]
	v_fmac_f64_e32 v[36:37], s[56:57], v[80:81]
	v_add_f64 v[30:31], v[32:33], v[30:31]
	v_fma_f64 v[32:33], v[58:59], s[12:13], -v[48:49]
	v_add_f64 v[26:27], v[128:129], v[26:27]
	v_mul_f64 v[128:129], v[86:87], s[30:31]
	v_add_f64 v[28:29], v[36:37], v[28:29]
	v_fmac_f64_e32 v[38:39], s[22:23], v[62:63]
	v_add_f64 v[30:31], v[32:33], v[30:31]
	v_fma_f64 v[32:33], v[56:57], s[38:39], -v[50:51]
	v_fma_f64 v[130:131], s[0:1], v[52:53], v[128:129]
	v_mul_f64 v[132:133], v[76:77], s[20:21]
	v_add_f64 v[28:29], v[38:39], v[28:29]
	v_fmac_f64_e32 v[40:41], s[30:31], v[60:61]
	v_add_f64 v[30:31], v[32:33], v[30:31]
	v_fma_f64 v[32:33], v[54:55], s[10:11], -v[126:127]
	v_add_f64 v[130:131], v[130:131], v[26:27]
	v_fma_f64 v[26:27], s[28:29], v[74:75], v[132:133]
	v_mul_f64 v[134:135], v[66:67], s[54:55]
	v_add_f64 v[28:29], v[40:41], v[28:29]
	v_add_f64 v[30:31], v[32:33], v[30:31]
	v_fma_f64 v[32:33], v[52:53], s[0:1], -v[128:129]
	v_fmac_f64_e32 v[132:133], s[54:55], v[74:75]
	v_add_f64 v[32:33], v[32:33], v[30:31]
	v_add_f64 v[30:31], v[132:133], v[28:29]
	v_fma_f64 v[28:29], v[64:65], s[20:21], -v[134:135]
	v_mul_f64 v[36:37], v[120:121], s[26:27]
	v_add_f64 v[28:29], v[28:29], v[32:33]
	v_fma_f64 v[32:33], s[48:49], v[98:99], v[36:37]
	v_mul_f64 v[38:39], v[118:119], s[12:13]
	v_add_f64 v[32:33], v[2:3], v[32:33]
	v_fma_f64 v[34:35], s[36:37], v[90:91], v[38:39]
	;; [unrolled: 3-line block ×9, first 2 shown]
	v_add_f64 v[26:27], v[26:27], v[24:25]
	v_fma_f64 v[24:25], s[20:21], v[64:65], v[134:135]
	v_add_f64 v[34:35], v[128:129], v[34:35]
	v_mul_f64 v[128:129], v[108:109], s[52:53]
	v_add_f64 v[24:25], v[24:25], v[130:131]
	v_fma_f64 v[130:131], s[10:11], v[78:79], v[128:129]
	v_fmac_f64_e32 v[36:37], s[44:45], v[98:99]
	v_add_f64 v[34:35], v[130:131], v[34:35]
	v_mul_f64 v[130:131], v[104:105], s[28:29]
	v_fmac_f64_e32 v[38:39], s[34:35], v[90:91]
	v_add_f64 v[36:37], v[2:3], v[36:37]
	v_fma_f64 v[132:133], s[20:21], v[58:59], v[130:131]
	v_add_f64 v[36:37], v[38:39], v[36:37]
	v_fmac_f64_e32 v[40:41], s[52:53], v[88:89]
	v_add_f64 v[34:35], v[132:133], v[34:35]
	v_mul_f64 v[132:133], v[96:97], s[30:31]
	v_add_f64 v[36:37], v[40:41], v[36:37]
	v_fma_f64 v[40:41], v[100:101], s[26:27], -v[50:51]
	v_fma_f64 v[134:135], s[0:1], v[56:57], v[132:133]
	v_fma_f64 v[38:39], v[82:83], s[12:13], -v[126:127]
	v_add_f64 v[40:41], v[0:1], v[40:41]
	v_add_f64 v[34:35], v[134:135], v[34:35]
	v_mul_f64 v[134:135], v[92:93], s[56:57]
	v_fmac_f64_e32 v[42:43], s[28:29], v[84:85]
	v_add_f64 v[38:39], v[38:39], v[40:41]
	v_fma_f64 v[40:41], v[78:79], s[10:11], -v[128:129]
	v_fma_f64 v[136:137], s[38:39], v[54:55], v[134:135]
	v_add_f64 v[36:37], v[42:43], v[36:37]
	v_fmac_f64_e32 v[44:45], s[30:31], v[80:81]
	v_add_f64 v[38:39], v[40:41], v[38:39]
	v_fma_f64 v[40:41], v[58:59], s[20:21], -v[130:131]
	v_add_f64 v[34:35], v[136:137], v[34:35]
	v_mul_f64 v[136:137], v[86:87], s[18:19]
	v_add_f64 v[36:37], v[44:45], v[36:37]
	v_fmac_f64_e32 v[46:47], s[56:57], v[62:63]
	v_add_f64 v[38:39], v[40:41], v[38:39]
	v_fma_f64 v[40:41], v[56:57], s[0:1], -v[132:133]
	v_fma_f64 v[138:139], s[14:15], v[52:53], v[136:137]
	v_mul_f64 v[140:141], v[76:77], s[16:17]
	v_add_f64 v[36:37], v[46:47], v[36:37]
	v_fmac_f64_e32 v[48:49], s[18:19], v[60:61]
	v_add_f64 v[38:39], v[40:41], v[38:39]
	v_fma_f64 v[40:41], v[54:55], s[38:39], -v[134:135]
	v_add_f64 v[138:139], v[138:139], v[34:35]
	v_fma_f64 v[34:35], s[42:43], v[74:75], v[140:141]
	v_mul_f64 v[142:143], v[66:67], s[40:41]
	v_add_f64 v[36:37], v[48:49], v[36:37]
	v_add_f64 v[38:39], v[40:41], v[38:39]
	v_fma_f64 v[40:41], v[52:53], s[14:15], -v[136:137]
	v_fmac_f64_e32 v[140:141], s[40:41], v[74:75]
	v_add_f64 v[40:41], v[40:41], v[38:39]
	v_add_f64 v[38:39], v[140:141], v[36:37]
	v_fma_f64 v[36:37], v[64:65], s[16:17], -v[142:143]
	v_mul_f64 v[44:45], v[120:121], s[38:39]
	v_add_f64 v[36:37], v[36:37], v[40:41]
	v_fma_f64 v[40:41], s[56:57], v[98:99], v[44:45]
	v_mul_f64 v[46:47], v[118:119], s[0:1]
	v_add_f64 v[40:41], v[2:3], v[40:41]
	v_fma_f64 v[42:43], s[24:25], v[90:91], v[46:47]
	;; [unrolled: 3-line block ×9, first 2 shown]
	v_add_f64 v[34:35], v[34:35], v[32:33]
	v_fma_f64 v[32:33], s[16:17], v[64:65], v[142:143]
	v_add_f64 v[42:43], v[136:137], v[42:43]
	v_mul_f64 v[136:137], v[108:109], s[48:49]
	v_add_f64 v[32:33], v[32:33], v[138:139]
	v_fma_f64 v[138:139], s[26:27], v[78:79], v[136:137]
	v_fmac_f64_e32 v[44:45], s[46:47], v[98:99]
	v_add_f64 v[42:43], v[138:139], v[42:43]
	v_mul_f64 v[138:139], v[104:105], s[50:51]
	v_fmac_f64_e32 v[46:47], s[30:31], v[90:91]
	v_add_f64 v[44:45], v[2:3], v[44:45]
	v_fma_f64 v[140:141], s[14:15], v[58:59], v[138:139]
	v_add_f64 v[44:45], v[46:47], v[44:45]
	v_fmac_f64_e32 v[48:49], s[48:49], v[88:89]
	v_add_f64 v[42:43], v[140:141], v[42:43]
	v_mul_f64 v[140:141], v[96:97], s[28:29]
	v_add_f64 v[44:45], v[48:49], v[44:45]
	v_fma_f64 v[48:49], v[100:101], s[38:39], -v[132:133]
	v_fma_f64 v[142:143], s[20:21], v[56:57], v[140:141]
	v_fma_f64 v[46:47], v[82:83], s[0:1], -v[134:135]
	v_add_f64 v[48:49], v[0:1], v[48:49]
	v_add_f64 v[42:43], v[142:143], v[42:43]
	v_mul_f64 v[142:143], v[92:93], s[36:37]
	v_fmac_f64_e32 v[50:51], s[50:51], v[84:85]
	v_add_f64 v[46:47], v[46:47], v[48:49]
	v_fma_f64 v[48:49], v[78:79], s[26:27], -v[136:137]
	v_fma_f64 v[144:145], s[12:13], v[54:55], v[142:143]
	v_add_f64 v[44:45], v[50:51], v[44:45]
	v_fmac_f64_e32 v[126:127], s[28:29], v[80:81]
	v_add_f64 v[46:47], v[48:49], v[46:47]
	v_fma_f64 v[48:49], v[58:59], s[14:15], -v[138:139]
	v_add_f64 v[42:43], v[144:145], v[42:43]
	v_mul_f64 v[144:145], v[86:87], s[42:43]
	v_add_f64 v[44:45], v[126:127], v[44:45]
	v_fmac_f64_e32 v[128:129], s[36:37], v[62:63]
	v_add_f64 v[46:47], v[48:49], v[46:47]
	v_fma_f64 v[48:49], v[56:57], s[20:21], -v[140:141]
	v_fma_f64 v[146:147], s[16:17], v[52:53], v[144:145]
	v_mul_f64 v[148:149], v[76:77], s[10:11]
	v_add_f64 v[44:45], v[128:129], v[44:45]
	v_fmac_f64_e32 v[130:131], s[42:43], v[60:61]
	v_add_f64 v[46:47], v[48:49], v[46:47]
	v_fma_f64 v[48:49], v[54:55], s[12:13], -v[142:143]
	v_add_f64 v[146:147], v[146:147], v[42:43]
	v_fma_f64 v[42:43], s[22:23], v[74:75], v[148:149]
	v_mul_f64 v[150:151], v[66:67], s[52:53]
	v_add_f64 v[44:45], v[130:131], v[44:45]
	v_add_f64 v[46:47], v[48:49], v[46:47]
	v_fma_f64 v[48:49], v[52:53], s[16:17], -v[144:145]
	v_fmac_f64_e32 v[148:149], s[52:53], v[74:75]
	v_add_f64 v[46:47], v[48:49], v[46:47]
	v_add_f64 v[50:51], v[148:149], v[44:45]
	v_fma_f64 v[44:45], v[64:65], s[10:11], -v[150:151]
	v_mul_f64 v[126:127], v[120:121], s[20:21]
	v_add_f64 v[48:49], v[44:45], v[46:47]
	v_fma_f64 v[44:45], s[54:55], v[98:99], v[126:127]
	v_mul_f64 v[128:129], v[118:119], s[16:17]
	v_add_f64 v[44:45], v[2:3], v[44:45]
	v_fma_f64 v[46:47], s[42:43], v[90:91], v[128:129]
	;; [unrolled: 3-line block ×9, first 2 shown]
	v_add_f64 v[42:43], v[42:43], v[40:41]
	v_fma_f64 v[40:41], s[10:11], v[64:65], v[150:151]
	v_add_f64 v[46:47], v[144:145], v[46:47]
	v_mul_f64 v[144:145], v[108:109], s[24:25]
	v_add_f64 v[40:41], v[40:41], v[146:147]
	v_fma_f64 v[146:147], s[0:1], v[78:79], v[144:145]
	v_fmac_f64_e32 v[126:127], s[28:29], v[98:99]
	v_add_f64 v[46:47], v[146:147], v[46:47]
	v_mul_f64 v[146:147], v[104:105], s[48:49]
	v_fmac_f64_e32 v[128:129], s[40:41], v[90:91]
	v_add_f64 v[126:127], v[2:3], v[126:127]
	v_fma_f64 v[148:149], s[26:27], v[58:59], v[146:147]
	v_add_f64 v[126:127], v[128:129], v[126:127]
	v_fmac_f64_e32 v[130:131], s[24:25], v[88:89]
	v_add_f64 v[46:47], v[148:149], v[46:47]
	v_mul_f64 v[148:149], v[96:97], s[52:53]
	v_add_f64 v[126:127], v[130:131], v[126:127]
	v_fma_f64 v[130:131], v[100:101], s[20:21], -v[140:141]
	v_fma_f64 v[150:151], s[10:11], v[56:57], v[148:149]
	v_fma_f64 v[128:129], v[82:83], s[16:17], -v[142:143]
	v_add_f64 v[130:131], v[0:1], v[130:131]
	v_add_f64 v[46:47], v[150:151], v[46:47]
	v_mul_f64 v[150:151], v[92:93], s[18:19]
	v_fmac_f64_e32 v[132:133], s[48:49], v[84:85]
	v_add_f64 v[128:129], v[128:129], v[130:131]
	v_fma_f64 v[130:131], v[78:79], s[0:1], -v[144:145]
	v_fma_f64 v[152:153], s[14:15], v[54:55], v[150:151]
	v_add_f64 v[126:127], v[132:133], v[126:127]
	v_fmac_f64_e32 v[134:135], s[52:53], v[80:81]
	v_add_f64 v[128:129], v[130:131], v[128:129]
	v_fma_f64 v[130:131], v[58:59], s[26:27], -v[146:147]
	v_add_f64 v[46:47], v[152:153], v[46:47]
	v_mul_f64 v[152:153], v[86:87], s[46:47]
	v_add_f64 v[126:127], v[134:135], v[126:127]
	v_fmac_f64_e32 v[136:137], s[18:19], v[62:63]
	v_add_f64 v[128:129], v[130:131], v[128:129]
	v_fma_f64 v[130:131], v[56:57], s[10:11], -v[148:149]
	v_fma_f64 v[154:155], s[38:39], v[52:53], v[152:153]
	v_mul_f64 v[156:157], v[76:77], s[12:13]
	v_add_f64 v[126:127], v[136:137], v[126:127]
	v_fmac_f64_e32 v[138:139], s[46:47], v[60:61]
	v_add_f64 v[128:129], v[130:131], v[128:129]
	v_fma_f64 v[130:131], v[54:55], s[14:15], -v[150:151]
	v_add_f64 v[154:155], v[154:155], v[46:47]
	v_fma_f64 v[46:47], s[34:35], v[74:75], v[156:157]
	v_mul_f64 v[158:159], v[66:67], s[36:37]
	v_add_f64 v[126:127], v[138:139], v[126:127]
	v_add_f64 v[128:129], v[130:131], v[128:129]
	v_fma_f64 v[130:131], v[52:53], s[38:39], -v[152:153]
	v_fmac_f64_e32 v[156:157], s[36:37], v[74:75]
	v_add_f64 v[130:131], v[130:131], v[128:129]
	v_add_f64 v[128:129], v[156:157], v[126:127]
	v_fma_f64 v[126:127], v[64:65], s[12:13], -v[158:159]
	v_mul_f64 v[134:135], v[120:121], s[10:11]
	v_add_f64 v[126:127], v[126:127], v[130:131]
	v_fma_f64 v[130:131], s[52:53], v[98:99], v[134:135]
	v_mul_f64 v[136:137], v[118:119], s[38:39]
	v_add_f64 v[130:131], v[2:3], v[130:131]
	v_fma_f64 v[132:133], s[56:57], v[90:91], v[136:137]
	;; [unrolled: 3-line block ×9, first 2 shown]
	v_add_f64 v[46:47], v[46:47], v[44:45]
	v_fma_f64 v[44:45], s[12:13], v[64:65], v[158:159]
	v_add_f64 v[132:133], v[152:153], v[132:133]
	v_mul_f64 v[152:153], v[108:109], s[40:41]
	v_add_f64 v[44:45], v[44:45], v[154:155]
	v_fma_f64 v[154:155], s[16:17], v[78:79], v[152:153]
	v_fmac_f64_e32 v[134:135], s[22:23], v[98:99]
	v_add_f64 v[132:133], v[154:155], v[132:133]
	v_mul_f64 v[154:155], v[104:105], s[30:31]
	v_fmac_f64_e32 v[136:137], s[46:47], v[90:91]
	v_add_f64 v[134:135], v[2:3], v[134:135]
	v_fma_f64 v[156:157], s[0:1], v[58:59], v[154:155]
	v_add_f64 v[134:135], v[136:137], v[134:135]
	v_fmac_f64_e32 v[138:139], s[40:41], v[88:89]
	v_add_f64 v[132:133], v[156:157], v[132:133]
	v_mul_f64 v[156:157], v[96:97], s[34:35]
	v_add_f64 v[134:135], v[138:139], v[134:135]
	v_fma_f64 v[138:139], v[100:101], s[10:11], -v[148:149]
	v_fma_f64 v[158:159], s[12:13], v[56:57], v[156:157]
	v_fma_f64 v[136:137], v[82:83], s[38:39], -v[150:151]
	v_add_f64 v[138:139], v[0:1], v[138:139]
	v_add_f64 v[132:133], v[158:159], v[132:133]
	v_mul_f64 v[158:159], v[92:93], s[48:49]
	v_fmac_f64_e32 v[140:141], s[30:31], v[84:85]
	v_add_f64 v[136:137], v[136:137], v[138:139]
	v_fma_f64 v[138:139], v[78:79], s[16:17], -v[152:153]
	v_fma_f64 v[160:161], s[26:27], v[54:55], v[158:159]
	v_add_f64 v[134:135], v[140:141], v[134:135]
	v_fmac_f64_e32 v[142:143], s[34:35], v[80:81]
	v_add_f64 v[136:137], v[138:139], v[136:137]
	v_fma_f64 v[138:139], v[58:59], s[0:1], -v[154:155]
	v_add_f64 v[132:133], v[160:161], v[132:133]
	v_mul_f64 v[160:161], v[86:87], s[54:55]
	v_add_f64 v[134:135], v[142:143], v[134:135]
	v_fmac_f64_e32 v[144:145], s[48:49], v[62:63]
	v_add_f64 v[136:137], v[138:139], v[136:137]
	v_fma_f64 v[138:139], v[56:57], s[12:13], -v[156:157]
	v_fma_f64 v[162:163], s[20:21], v[52:53], v[160:161]
	v_mul_f64 v[164:165], v[76:77], s[14:15]
	v_add_f64 v[134:135], v[144:145], v[134:135]
	v_fmac_f64_e32 v[146:147], s[54:55], v[60:61]
	v_add_f64 v[136:137], v[138:139], v[136:137]
	v_fma_f64 v[138:139], v[54:55], s[26:27], -v[158:159]
	v_add_f64 v[162:163], v[162:163], v[132:133]
	v_fma_f64 v[132:133], s[18:19], v[74:75], v[164:165]
	v_mul_f64 v[166:167], v[66:67], s[50:51]
	v_add_f64 v[134:135], v[146:147], v[134:135]
	v_add_f64 v[136:137], v[138:139], v[136:137]
	v_fma_f64 v[138:139], v[52:53], s[20:21], -v[160:161]
	v_fmac_f64_e32 v[164:165], s[50:51], v[74:75]
	v_add_f64 v[138:139], v[138:139], v[136:137]
	v_add_f64 v[136:137], v[164:165], v[134:135]
	v_fma_f64 v[134:135], v[64:65], s[14:15], -v[166:167]
	v_mul_f64 v[120:121], v[120:121], s[14:15]
	v_add_f64 v[134:135], v[134:135], v[138:139]
	v_mul_f64 v[118:119], v[118:119], s[10:11]
	v_fma_f64 v[138:139], s[50:51], v[98:99], v[120:121]
	v_add_f64 v[138:139], v[2:3], v[138:139]
	v_fma_f64 v[140:141], s[52:53], v[90:91], v[118:119]
	v_mul_f64 v[116:117], v[116:117], s[20:21]
	v_add_f64 v[138:139], v[140:141], v[138:139]
	v_fma_f64 v[140:141], s[54:55], v[88:89], v[116:117]
	v_mul_f64 v[110:111], v[110:111], s[38:39]
	;; [unrolled: 3-line block ×4, first 2 shown]
	v_add_f64 v[138:139], v[140:141], v[138:139]
	v_fma_f64 v[140:141], s[42:43], v[62:63], v[102:103]
	v_add_f64 v[138:139], v[140:141], v[138:139]
	v_mul_f64 v[140:141], v[94:95], s[12:13]
	v_fma_f64 v[94:95], s[34:35], v[60:61], v[140:141]
	v_mul_f64 v[114:115], v[114:115], s[18:19]
	v_add_f64 v[94:95], v[94:95], v[138:139]
	v_mul_f64 v[112:113], v[112:113], s[22:23]
	v_fma_f64 v[138:139], s[14:15], v[100:101], v[114:115]
	v_add_f64 v[138:139], v[0:1], v[138:139]
	v_fma_f64 v[142:143], s[10:11], v[82:83], v[112:113]
	v_mul_f64 v[108:109], v[108:109], s[28:29]
	v_add_f64 v[138:139], v[142:143], v[138:139]
	v_fma_f64 v[142:143], s[20:21], v[78:79], v[108:109]
	v_mul_f64 v[104:105], v[104:105], s[46:47]
	;; [unrolled: 3-line block ×3, first 2 shown]
	v_add_f64 v[138:139], v[142:143], v[138:139]
	v_fma_f64 v[142:143], s[26:27], v[56:57], v[96:97]
	v_add_f64 v[138:139], v[142:143], v[138:139]
	v_mul_f64 v[142:143], v[92:93], s[40:41]
	v_fma_f64 v[92:93], s[16:17], v[54:55], v[142:143]
	v_mul_f64 v[86:87], v[86:87], s[36:37]
	v_add_f64 v[92:93], v[92:93], v[138:139]
	v_fma_f64 v[138:139], s[12:13], v[52:53], v[86:87]
	v_mul_f64 v[76:77], v[76:77], s[0:1]
	v_add_f64 v[92:93], v[138:139], v[92:93]
	v_fma_f64 v[138:139], s[24:25], v[74:75], v[76:77]
	v_mul_f64 v[66:67], v[66:67], s[30:31]
	v_fmac_f64_e32 v[120:121], s[18:19], v[98:99]
	v_fma_f64 v[98:99], v[100:101], s[14:15], -v[114:115]
	v_add_f64 v[132:133], v[132:133], v[130:131]
	v_fma_f64 v[130:131], s[14:15], v[64:65], v[166:167]
	v_add_f64 v[94:95], v[138:139], v[94:95]
	v_fma_f64 v[138:139], s[0:1], v[64:65], v[66:67]
	v_add_f64 v[0:1], v[0:1], v[98:99]
	v_fmac_f64_e32 v[140:141], s[36:37], v[60:61]
	v_fma_f64 v[60:61], v[64:65], s[0:1], -v[66:67]
	v_fma_f64 v[64:65], v[82:83], s[10:11], -v[112:113]
	v_add_f64 v[2:3], v[2:3], v[120:121]
	v_fmac_f64_e32 v[102:103], s[40:41], v[62:63]
	v_fmac_f64_e32 v[118:119], s[22:23], v[90:91]
	v_fma_f64 v[62:63], v[78:79], s[20:21], -v[108:109]
	v_add_f64 v[0:1], v[64:65], v[0:1]
	v_fmac_f64_e32 v[116:117], s[28:29], v[88:89]
	v_add_f64 v[2:3], v[118:119], v[2:3]
	v_fma_f64 v[58:59], v[58:59], s[38:39], -v[104:105]
	v_add_f64 v[0:1], v[62:63], v[0:1]
	v_fmac_f64_e32 v[110:111], s[46:47], v[84:85]
	v_add_f64 v[2:3], v[116:117], v[2:3]
	;; [unrolled: 4-line block ×3, first 2 shown]
	v_fma_f64 v[54:55], v[54:55], s[16:17], -v[142:143]
	v_add_f64 v[0:1], v[56:57], v[0:1]
	v_add_f64 v[2:3], v[106:107], v[2:3]
	v_fma_f64 v[52:53], v[52:53], s[12:13], -v[86:87]
	v_add_f64 v[0:1], v[54:55], v[0:1]
	v_add_f64 v[2:3], v[102:103], v[2:3]
	v_add_f64 v[0:1], v[52:53], v[0:1]
	v_mul_u32_u24_e32 v52, 0x110, v70
	v_fmac_f64_e32 v[76:77], s[30:31], v[74:75]
	v_add_f64 v[2:3], v[140:141], v[2:3]
	v_add3_u32 v52, 0, v52, v125
	v_add_f64 v[130:131], v[130:131], v[162:163]
	v_add_f64 v[92:93], v[138:139], v[92:93]
	;; [unrolled: 1-line block ×4, first 2 shown]
	ds_write_b128 v52, v[4:7]
	ds_write_b128 v52, v[0:3] offset:16
	ds_write_b128 v52, v[134:137] offset:32
	;; [unrolled: 1-line block ×16, first 2 shown]
.LBB0_14:
	s_or_b64 exec, exec, s[4:5]
	v_subrev_u32_e32 v0, 17, v70
	v_cmp_gt_u32_e64 s[0:1], 17, v70
	v_mov_b32_e32 v5, 0
	v_mov_b32_e32 v26, 4
	v_cndmask_b32_e64 v4, v0, v70, s[0:1]
	v_add_u16_e32 v0, 34, v70
	s_movk_i32 s0, 0xf1
	v_mul_lo_u16_sdwa v1, v0, s0 dst_sel:DWORD dst_unused:UNUSED_PAD src0_sel:BYTE_0 src1_sel:DWORD
	v_lshrrev_b16_e32 v106, 12, v1
	v_mul_lo_u16_e32 v1, 17, v106
	v_lshl_add_u64 v[10:11], v[4:5], 4, s[8:9]
	v_sub_u16_e32 v0, v0, v1
	s_load_dwordx2 s[2:3], s[2:3], 0x0
	s_waitcnt lgkmcnt(0)
	s_barrier
	v_lshlrev_b32_sdwa v107, v26, v0 dst_sel:DWORD dst_unused:UNUSED_PAD src0_sel:DWORD src1_sel:BYTE_0
	global_load_dwordx4 v[0:3], v[10:11], off
	global_load_dwordx4 v[6:9], v107, s[8:9]
	v_add_u16_e32 v10, 0x44, v70
	v_add_u16_e32 v18, 0x88, v70
	v_mul_lo_u16_sdwa v11, v10, s0 dst_sel:DWORD dst_unused:UNUSED_PAD src0_sel:BYTE_0 src1_sel:DWORD
	v_mul_lo_u16_sdwa v19, v18, s0 dst_sel:DWORD dst_unused:UNUSED_PAD src0_sel:BYTE_0 src1_sel:DWORD
	v_lshrrev_b16_e32 v108, 12, v11
	v_lshrrev_b16_e32 v112, 12, v19
	v_mul_lo_u16_e32 v11, 17, v108
	v_mul_lo_u16_e32 v19, 17, v112
	v_sub_u16_e32 v10, v10, v11
	v_sub_u16_e32 v18, v18, v19
	v_lshlrev_b32_sdwa v109, v26, v10 dst_sel:DWORD dst_unused:UNUSED_PAD src0_sel:DWORD src1_sel:BYTE_0
	v_add_u16_e32 v10, 0x66, v70
	v_lshlrev_b32_sdwa v113, v26, v18 dst_sel:DWORD dst_unused:UNUSED_PAD src0_sel:DWORD src1_sel:BYTE_0
	v_add_u16_e32 v18, 0xaa, v70
	v_add_u16_e32 v27, 0xcc, v70
	v_mul_lo_u16_sdwa v11, v10, s0 dst_sel:DWORD dst_unused:UNUSED_PAD src0_sel:BYTE_0 src1_sel:DWORD
	v_mul_lo_u16_sdwa v19, v18, s0 dst_sel:DWORD dst_unused:UNUSED_PAD src0_sel:BYTE_0 src1_sel:DWORD
	;; [unrolled: 1-line block ×3, first 2 shown]
	v_lshrrev_b16_e32 v110, 12, v11
	v_lshrrev_b16_e32 v114, 12, v19
	;; [unrolled: 1-line block ×3, first 2 shown]
	v_mul_lo_u16_e32 v11, 17, v110
	v_mul_lo_u16_e32 v19, 17, v114
	;; [unrolled: 1-line block ×3, first 2 shown]
	v_add_u32_e32 v30, 0xee, v70
	v_sub_u16_e32 v10, v10, v11
	v_sub_u16_e32 v18, v18, v19
	;; [unrolled: 1-line block ×3, first 2 shown]
	s_mov_b32 s0, 0xf0f1
	v_lshlrev_b32_sdwa v111, v26, v10 dst_sel:DWORD dst_unused:UNUSED_PAD src0_sel:DWORD src1_sel:BYTE_0
	v_lshlrev_b32_sdwa v115, v26, v18 dst_sel:DWORD dst_unused:UNUSED_PAD src0_sel:DWORD src1_sel:BYTE_0
	;; [unrolled: 1-line block ×3, first 2 shown]
	v_mul_u32_u24_sdwa v26, v30, s0 dst_sel:DWORD dst_unused:UNUSED_PAD src0_sel:WORD_0 src1_sel:DWORD
	global_load_dwordx4 v[10:13], v109, s[8:9]
	global_load_dwordx4 v[14:17], v111, s[8:9]
	v_lshrrev_b32_e32 v118, 20, v26
	v_mul_lo_u16_e32 v31, 17, v118
	global_load_dwordx4 v[18:21], v113, s[8:9]
	global_load_dwordx4 v[22:25], v115, s[8:9]
	v_sub_u16_e32 v30, v30, v31
	global_load_dwordx4 v[26:29], v117, s[8:9]
	v_lshlrev_b32_e32 v119, 4, v30
	global_load_dwordx4 v[30:33], v119, s[8:9]
	ds_read_b128 v[34:37], v123
	ds_read_b128 v[38:41], v124 offset:544
	ds_read_b128 v[42:45], v124 offset:4352
	;; [unrolled: 1-line block ×15, first 2 shown]
	v_cmp_lt_u32_e64 s[0:1], 16, v70
	v_lshlrev_b32_e32 v4, 4, v4
	s_movk_i32 s4, 0x220
	s_waitcnt lgkmcnt(0)
	s_barrier
	s_mov_b32 s5, 0x3fe6a09e
	s_mov_b32 s12, 0xcf328d46
	;; [unrolled: 1-line block ×9, first 2 shown]
	s_waitcnt vmcnt(7)
	v_mul_f64 v[66:67], v[44:45], v[2:3]
	v_mul_f64 v[2:3], v[42:43], v[2:3]
	v_fma_f64 v[42:43], v[42:43], v[0:1], -v[66:67]
	v_fmac_f64_e32 v[2:3], v[44:45], v[0:1]
	s_waitcnt vmcnt(6)
	v_mul_f64 v[0:1], v[48:49], v[8:9]
	v_mul_f64 v[44:45], v[46:47], v[8:9]
	v_fma_f64 v[46:47], v[46:47], v[6:7], -v[0:1]
	v_fmac_f64_e32 v[44:45], v[48:49], v[6:7]
	v_add_f64 v[2:3], v[36:37], -v[2:3]
	s_waitcnt vmcnt(5)
	v_mul_f64 v[8:9], v[60:61], v[12:13]
	v_fma_f64 v[48:49], v[58:59], v[10:11], -v[8:9]
	v_mul_f64 v[58:59], v[58:59], v[12:13]
	s_waitcnt vmcnt(4)
	v_mul_f64 v[0:1], v[64:65], v[16:17]
	v_fmac_f64_e32 v[58:59], v[60:61], v[10:11]
	v_fma_f64 v[60:61], v[62:63], v[14:15], -v[0:1]
	v_mul_f64 v[62:63], v[62:63], v[16:17]
	s_waitcnt vmcnt(3)
	v_mul_f64 v[0:1], v[84:85], v[20:21]
	v_mul_f64 v[66:67], v[82:83], v[20:21]
	v_fmac_f64_e32 v[62:63], v[64:65], v[14:15]
	v_fma_f64 v[64:65], v[82:83], v[18:19], -v[0:1]
	v_fmac_f64_e32 v[66:67], v[84:85], v[18:19]
	s_waitcnt vmcnt(2)
	v_mul_f64 v[0:1], v[88:89], v[24:25]
	v_fma_f64 v[82:83], v[86:87], v[22:23], -v[0:1]
	s_waitcnt vmcnt(1)
	v_mul_f64 v[0:1], v[100:101], v[28:29]
	v_fma_f64 v[8:9], v[36:37], 2.0, -v[2:3]
	v_add_f64 v[36:37], v[76:77], -v[66:67]
	v_mov_b32_e32 v66, 0x220
	v_mul_f64 v[84:85], v[86:87], v[24:25]
	v_fma_f64 v[86:87], v[98:99], v[26:27], -v[0:1]
	s_waitcnt vmcnt(0)
	v_mul_f64 v[0:1], v[104:105], v[32:33]
	v_cndmask_b32_e64 v66, 0, v66, s[0:1]
	v_fmac_f64_e32 v[84:85], v[88:89], v[22:23]
	v_mul_f64 v[88:89], v[98:99], v[28:29]
	v_fma_f64 v[98:99], v[102:103], v[30:31], -v[0:1]
	v_add_f64 v[0:1], v[34:35], -v[42:43]
	v_add_u32_e32 v66, 0, v66
	v_fma_f64 v[6:7], v[34:35], 2.0, -v[0:1]
	v_add3_u32 v4, v66, v4, v125
	v_add_f64 v[10:11], v[38:39], -v[46:47]
	v_add_f64 v[12:13], v[40:41], -v[44:45]
	ds_write_b128 v4, v[6:9]
	ds_write_b128 v4, v[0:3] offset:272
	v_mad_u32_u24 v0, v106, s4, 0
	v_fma_f64 v[14:15], v[38:39], 2.0, -v[10:11]
	v_fma_f64 v[16:17], v[40:41], 2.0, -v[12:13]
	v_add3_u32 v0, v0, v107, v125
	v_add_f64 v[18:19], v[50:51], -v[48:49]
	v_add_f64 v[20:21], v[52:53], -v[58:59]
	ds_write_b128 v0, v[14:17]
	ds_write_b128 v0, v[10:13] offset:272
	v_mad_u32_u24 v0, v108, s4, 0
	v_fma_f64 v[22:23], v[50:51], 2.0, -v[18:19]
	v_fma_f64 v[24:25], v[52:53], 2.0, -v[20:21]
	v_add3_u32 v0, v0, v109, v125
	v_fmac_f64_e32 v[88:89], v[100:101], v[26:27]
	v_mul_f64 v[100:101], v[102:103], v[32:33]
	v_add_f64 v[26:27], v[54:55], -v[60:61]
	v_add_f64 v[28:29], v[56:57], -v[62:63]
	ds_write_b128 v0, v[22:25]
	ds_write_b128 v0, v[18:21] offset:272
	v_mad_u32_u24 v0, v110, s4, 0
	v_fmac_f64_e32 v[100:101], v[104:105], v[30:31]
	v_fma_f64 v[30:31], v[54:55], 2.0, -v[26:27]
	v_fma_f64 v[32:33], v[56:57], 2.0, -v[28:29]
	v_add3_u32 v0, v0, v111, v125
	v_add_f64 v[34:35], v[74:75], -v[64:65]
	ds_write_b128 v0, v[30:33]
	ds_write_b128 v0, v[26:29] offset:272
	v_mad_u32_u24 v0, v112, s4, 0
	v_fma_f64 v[38:39], v[74:75], 2.0, -v[34:35]
	v_fma_f64 v[40:41], v[76:77], 2.0, -v[36:37]
	v_add3_u32 v0, v0, v113, v125
	v_add_f64 v[42:43], v[78:79], -v[82:83]
	v_add_f64 v[44:45], v[80:81], -v[84:85]
	ds_write_b128 v0, v[38:41]
	ds_write_b128 v0, v[34:37] offset:272
	v_mad_u32_u24 v0, v114, s4, 0
	v_fma_f64 v[46:47], v[78:79], 2.0, -v[42:43]
	v_fma_f64 v[48:49], v[80:81], 2.0, -v[44:45]
	v_add3_u32 v0, v0, v115, v125
	v_add_f64 v[50:51], v[90:91], -v[86:87]
	;; [unrolled: 8-line block ×3, first 2 shown]
	v_add_f64 v[60:61], v[96:97], -v[100:101]
	ds_write_b128 v0, v[54:57]
	ds_write_b128 v0, v[50:53] offset:272
	v_mad_u32_u24 v0, v118, s4, 0
	v_fma_f64 v[62:63], v[94:95], 2.0, -v[58:59]
	v_fma_f64 v[64:65], v[96:97], 2.0, -v[60:61]
	v_add3_u32 v0, v0, v119, v125
	ds_write_b128 v0, v[62:65]
	ds_write_b128 v0, v[58:61] offset:272
	v_mul_u32_u24_e32 v0, 15, v70
	v_lshlrev_b32_e32 v4, 4, v0
	s_waitcnt lgkmcnt(0)
	s_barrier
	global_load_dwordx4 v[0:3], v4, s[8:9] offset:272
	global_load_dwordx4 v[6:9], v4, s[8:9] offset:288
	global_load_dwordx4 v[10:13], v4, s[8:9] offset:304
	global_load_dwordx4 v[14:17], v4, s[8:9] offset:320
	global_load_dwordx4 v[18:21], v4, s[8:9] offset:336
	global_load_dwordx4 v[22:25], v4, s[8:9] offset:352
	global_load_dwordx4 v[26:29], v4, s[8:9] offset:368
	global_load_dwordx4 v[30:33], v4, s[8:9] offset:384
	global_load_dwordx4 v[34:37], v4, s[8:9] offset:400
	global_load_dwordx4 v[38:41], v4, s[8:9] offset:416
	global_load_dwordx4 v[42:45], v4, s[8:9] offset:432
	global_load_dwordx4 v[46:49], v4, s[8:9] offset:448
	global_load_dwordx4 v[50:53], v4, s[8:9] offset:464
	global_load_dwordx4 v[54:57], v4, s[8:9] offset:480
	global_load_dwordx4 v[58:61], v4, s[8:9] offset:496
	ds_read_b128 v[62:65], v123
	ds_read_b128 v[74:77], v124 offset:544
	ds_read_b128 v[78:81], v124 offset:1088
	;; [unrolled: 1-line block ×15, first 2 shown]
	s_mov_b32 s0, 0x667f3bcd
	s_mov_b32 s1, 0xbfe6a09e
	s_mov_b32 s4, s0
	s_waitcnt lgkmcnt(0)
	s_barrier
	v_sub_u32_e32 v4, v122, v71
	s_waitcnt vmcnt(14)
	v_mul_f64 v[66:67], v[76:77], v[2:3]
	v_mul_f64 v[2:3], v[74:75], v[2:3]
	v_fma_f64 v[66:67], v[74:75], v[0:1], -v[66:67]
	v_fmac_f64_e32 v[2:3], v[76:77], v[0:1]
	s_waitcnt vmcnt(13)
	v_mul_f64 v[0:1], v[80:81], v[8:9]
	v_mul_f64 v[8:9], v[78:79], v[8:9]
	v_fma_f64 v[0:1], v[78:79], v[6:7], -v[0:1]
	v_fmac_f64_e32 v[8:9], v[80:81], v[6:7]
	;; [unrolled: 5-line block ×14, first 2 shown]
	s_waitcnt vmcnt(0)
	v_mul_f64 v[54:55], v[136:137], v[60:61]
	v_mul_f64 v[60:61], v[134:135], v[60:61]
	v_add_f64 v[26:27], v[62:63], -v[26:27]
	v_add_f64 v[32:33], v[64:65], -v[32:33]
	;; [unrolled: 1-line block ×8, first 2 shown]
	v_fma_f64 v[54:55], v[134:135], v[58:59], -v[54:55]
	v_fmac_f64_e32 v[60:61], v[136:137], v[58:59]
	v_fma_f64 v[58:59], v[62:63], 2.0, -v[26:27]
	v_fma_f64 v[62:63], v[64:65], 2.0, -v[32:33]
	;; [unrolled: 1-line block ×8, first 2 shown]
	v_add_f64 v[30:31], v[66:67], -v[30:31]
	v_add_f64 v[46:47], v[14:15], -v[46:47]
	;; [unrolled: 1-line block ×8, first 2 shown]
	v_fma_f64 v[64:65], v[66:67], 2.0, -v[30:31]
	v_add_f64 v[52:53], v[20:21], -v[52:53]
	v_fma_f64 v[14:15], v[14:15], 2.0, -v[46:47]
	v_fma_f64 v[6:7], v[6:7], 2.0, -v[38:39]
	v_add_f64 v[60:61], v[28:29], -v[60:61]
	v_fma_f64 v[22:23], v[22:23], 2.0, -v[54:55]
	v_fma_f64 v[58:59], v[58:59], 2.0, -v[10:11]
	;; [unrolled: 1-line block ×3, first 2 shown]
	v_add_f64 v[48:49], v[26:27], -v[48:49]
	v_fma_f64 v[0:1], v[0:1], 2.0, -v[18:19]
	v_fma_f64 v[8:9], v[8:9], 2.0, -v[24:25]
	v_add_f64 v[56:57], v[34:35], -v[56:57]
	v_add_f64 v[36:37], v[2:3], -v[36:37]
	v_fma_f64 v[20:21], v[20:21], 2.0, -v[52:53]
	v_add_f64 v[44:45], v[12:13], -v[44:45]
	v_fma_f64 v[28:29], v[28:29], 2.0, -v[60:61]
	v_add_f64 v[42:43], v[32:33], v[42:43]
	v_fma_f64 v[26:27], v[26:27], 2.0, -v[48:49]
	v_add_f64 v[50:51], v[40:41], v[50:51]
	v_fma_f64 v[34:35], v[34:35], 2.0, -v[56:57]
	v_add_f64 v[14:15], v[64:65], -v[14:15]
	v_add_f64 v[52:53], v[30:31], -v[52:53]
	;; [unrolled: 1-line block ×6, first 2 shown]
	v_fma_f64 v[82:83], s[4:5], v[56:57], v[48:49]
	v_fma_f64 v[32:33], v[32:33], 2.0, -v[42:43]
	v_fma_f64 v[40:41], v[40:41], 2.0, -v[50:51]
	;; [unrolled: 1-line block ×3, first 2 shown]
	v_add_f64 v[46:47], v[36:37], v[46:47]
	v_fma_f64 v[30:31], v[30:31], 2.0, -v[52:53]
	v_fma_f64 v[6:7], v[6:7], 2.0, -v[22:23]
	v_add_f64 v[54:55], v[44:45], v[54:55]
	v_fma_f64 v[38:39], v[38:39], 2.0, -v[60:61]
	v_fma_f64 v[8:9], v[58:59], 2.0, -v[66:67]
	;; [unrolled: 1-line block ×3, first 2 shown]
	v_fma_f64 v[62:63], s[0:1], v[34:35], v[26:27]
	v_fma_f64 v[84:85], s[4:5], v[50:51], v[42:43]
	v_fmac_f64_e32 v[82:83], s[0:1], v[50:51]
	v_fma_f64 v[2:3], v[2:3], 2.0, -v[36:37]
	v_fma_f64 v[12:13], v[12:13], 2.0, -v[44:45]
	;; [unrolled: 1-line block ×4, first 2 shown]
	v_fma_f64 v[76:77], s[0:1], v[40:41], v[32:33]
	v_fmac_f64_e32 v[62:63], s[0:1], v[40:41]
	v_fmac_f64_e32 v[84:85], s[4:5], v[56:57]
	v_fma_f64 v[40:41], v[48:49], 2.0, -v[82:83]
	v_add_f64 v[48:49], v[64:65], -v[6:7]
	v_fma_f64 v[56:57], s[0:1], v[38:39], v[30:31]
	v_add_f64 v[28:29], v[12:13], -v[28:29]
	v_add_f64 v[80:81], v[16:17], v[18:19]
	v_fma_f64 v[0:1], v[64:65], 2.0, -v[48:49]
	v_fma_f64 v[64:65], s[0:1], v[44:45], v[36:37]
	v_fmac_f64_e32 v[56:57], s[0:1], v[44:45]
	v_add_f64 v[20:21], v[2:3], -v[20:21]
	v_fmac_f64_e32 v[76:77], s[4:5], v[34:35]
	v_fma_f64 v[26:27], v[26:27], 2.0, -v[62:63]
	v_add_f64 v[78:79], v[10:11], -v[24:25]
	v_fma_f64 v[34:35], v[16:17], 2.0, -v[80:81]
	v_fmac_f64_e32 v[64:65], s[4:5], v[38:39]
	v_fma_f64 v[16:17], v[30:31], 2.0, -v[56:57]
	v_add_f64 v[86:87], v[14:15], -v[28:29]
	v_fma_f64 v[92:93], s[4:5], v[54:55], v[46:47]
	v_fma_f64 v[2:3], v[2:3], 2.0, -v[20:21]
	v_fma_f64 v[12:13], v[12:13], 2.0, -v[28:29]
	;; [unrolled: 1-line block ×5, first 2 shown]
	v_add_f64 v[88:89], v[20:21], v[22:23]
	v_fma_f64 v[22:23], v[14:15], 2.0, -v[86:87]
	v_fma_f64 v[90:91], s[4:5], v[60:61], v[52:53]
	v_fmac_f64_e32 v[92:93], s[4:5], v[60:61]
	v_fma_f64 v[10:11], s[12:13], v[16:17], v[26:27]
	v_fma_f64 v[42:43], v[42:43], 2.0, -v[84:85]
	v_add_f64 v[50:51], v[2:3], -v[12:13]
	v_fma_f64 v[28:29], v[20:21], 2.0, -v[88:89]
	v_fmac_f64_e32 v[90:91], s[0:1], v[54:55]
	v_fma_f64 v[36:37], v[46:47], 2.0, -v[92:93]
	v_fma_f64 v[12:13], s[12:13], v[18:19], v[32:33]
	v_fmac_f64_e32 v[10:11], s[10:11], v[18:19]
	v_fma_f64 v[18:19], s[0:1], v[22:23], v[24:25]
	v_fma_f64 v[2:3], v[2:3], 2.0, -v[50:51]
	v_fma_f64 v[30:31], v[52:53], 2.0, -v[90:91]
	v_fma_f64 v[20:21], s[0:1], v[28:29], v[34:35]
	v_fmac_f64_e32 v[18:19], s[0:1], v[28:29]
	v_fma_f64 v[28:29], s[10:11], v[36:37], v[42:43]
	v_add_f64 v[0:1], v[8:9], -v[0:1]
	v_add_f64 v[2:3], v[58:59], -v[2:3]
	v_fmac_f64_e32 v[12:13], s[14:15], v[16:17]
	v_fmac_f64_e32 v[20:21], s[4:5], v[22:23]
	;; [unrolled: 1-line block ×3, first 2 shown]
	v_fma_f64 v[6:7], v[8:9], 2.0, -v[0:1]
	v_fma_f64 v[8:9], v[58:59], 2.0, -v[2:3]
	;; [unrolled: 1-line block ×6, first 2 shown]
	v_fma_f64 v[26:27], s[10:11], v[30:31], v[40:41]
	v_fma_f64 v[32:33], v[42:43], 2.0, -v[28:29]
	v_add_f64 v[34:35], v[66:67], -v[50:51]
	v_fma_f64 v[42:43], s[14:15], v[56:57], v[62:63]
	v_fma_f64 v[44:45], s[14:15], v[64:65], v[76:77]
	;; [unrolled: 1-line block ×6, first 2 shown]
	v_fmac_f64_e32 v[26:27], s[12:13], v[36:37]
	v_add_f64 v[36:37], v[74:75], v[48:49]
	v_fmac_f64_e32 v[42:43], s[12:13], v[64:65]
	v_fmac_f64_e32 v[44:45], s[16:17], v[56:57]
	;; [unrolled: 1-line block ×6, first 2 shown]
	v_fma_f64 v[30:31], v[40:41], 2.0, -v[26:27]
	v_fma_f64 v[38:39], v[66:67], 2.0, -v[34:35]
	;; [unrolled: 1-line block ×9, first 2 shown]
	ds_write_b128 v124, v[6:9]
	ds_write_b128 v124, v[14:17] offset:544
	ds_write_b128 v124, v[22:25] offset:1088
	;; [unrolled: 1-line block ×15, first 2 shown]
	s_waitcnt lgkmcnt(0)
	s_barrier
	ds_read_b128 v[0:3], v123
	s_add_u32 s4, s8, 0x20f0
	s_addc_u32 s5, s9, 0
	v_cmp_ne_u32_e64 s[0:1], 0, v70
                                        ; implicit-def: $vgpr8_vgpr9
                                        ; implicit-def: $vgpr6_vgpr7
                                        ; implicit-def: $vgpr10_vgpr11
	s_and_saveexec_b64 s[8:9], s[0:1]
	s_xor_b64 s[0:1], exec, s[8:9]
	s_cbranch_execz .LBB0_16
; %bb.15:
	v_mov_b32_e32 v71, v5
	v_lshl_add_u64 v[6:7], v[70:71], 4, s[4:5]
	global_load_dwordx4 v[8:11], v[6:7], off
	ds_read_b128 v[12:15], v4 offset:8704
	s_waitcnt lgkmcnt(0)
	v_add_f64 v[16:17], v[0:1], v[12:13]
	v_add_f64 v[6:7], v[2:3], v[14:15]
	v_add_f64 v[0:1], v[0:1], -v[12:13]
	v_add_f64 v[2:3], v[2:3], -v[14:15]
	v_mul_f64 v[12:13], v[6:7], 0.5
	v_mul_f64 v[0:1], v[0:1], 0.5
	;; [unrolled: 1-line block ×3, first 2 shown]
	s_waitcnt vmcnt(0)
	v_mul_f64 v[14:15], v[0:1], v[10:11]
	v_fma_f64 v[18:19], v[12:13], v[10:11], v[2:3]
	v_fma_f64 v[2:3], v[12:13], v[10:11], -v[2:3]
	v_fma_f64 v[6:7], 0.5, v[16:17], v[14:15]
	v_fma_f64 v[10:11], -v[8:9], v[0:1], v[18:19]
	v_fma_f64 v[14:15], v[16:17], 0.5, -v[14:15]
	v_fma_f64 v[0:1], -v[8:9], v[0:1], v[2:3]
	v_fmac_f64_e32 v[6:7], v[12:13], v[8:9]
	ds_write_b64 v123, v[10:11] offset:8
	v_fma_f64 v[8:9], -v[12:13], v[8:9], v[14:15]
	ds_write_b64 v4, v[0:1] offset:8712
	v_mov_b64_e32 v[10:11], v[70:71]
                                        ; implicit-def: $vgpr0_vgpr1
.LBB0_16:
	s_andn2_saveexec_b64 s[0:1], s[0:1]
	s_cbranch_execz .LBB0_18
; %bb.17:
	s_mov_b32 s8, 0
	s_mov_b32 s9, s8
	v_mov_b64_e32 v[6:7], s[8:9]
	ds_write_b64 v123, v[6:7] offset:8
	ds_write_b64 v4, v[6:7] offset:8712
	ds_read_b64 v[10:11], v122 offset:4360
	s_waitcnt lgkmcnt(3)
	v_add_f64 v[6:7], v[0:1], v[2:3]
	v_add_f64 v[8:9], v[0:1], -v[2:3]
	s_waitcnt lgkmcnt(0)
	v_xor_b32_e32 v11, 0x80000000, v11
	ds_write_b64 v122, v[10:11] offset:4360
	v_mov_b64_e32 v[10:11], 0
.LBB0_18:
	s_or_b64 exec, exec, s[0:1]
	s_waitcnt lgkmcnt(0)
	v_lshl_add_u64 v[0:1], v[10:11], 4, s[4:5]
	global_load_dwordx4 v[10:13], v[0:1], off offset:544
	global_load_dwordx4 v[14:17], v[0:1], off offset:1088
	;; [unrolled: 1-line block ×3, first 2 shown]
	ds_write_b64 v123, v[6:7]
	ds_write_b64 v4, v[8:9] offset:8704
	ds_read_b128 v[6:9], v123 offset:544
	ds_read_b128 v[22:25], v4 offset:8160
	global_load_dwordx4 v[26:29], v[0:1], off offset:2176
	v_add_u32_e32 v5, 0x800, v123
	s_waitcnt lgkmcnt(0)
	v_add_f64 v[2:3], v[6:7], v[22:23]
	v_add_f64 v[6:7], v[6:7], -v[22:23]
	v_add_f64 v[30:31], v[8:9], v[24:25]
	v_add_f64 v[8:9], v[8:9], -v[24:25]
	v_mul_f64 v[6:7], v[6:7], 0.5
	v_mul_f64 v[22:23], v[30:31], 0.5
	v_mul_f64 v[8:9], v[8:9], 0.5
	s_waitcnt vmcnt(3)
	v_mul_f64 v[24:25], v[6:7], v[12:13]
	v_fma_f64 v[30:31], v[22:23], v[12:13], v[8:9]
	v_fma_f64 v[8:9], v[22:23], v[12:13], -v[8:9]
	v_fma_f64 v[12:13], 0.5, v[2:3], v[24:25]
	v_fma_f64 v[30:31], -v[10:11], v[6:7], v[30:31]
	v_fma_f64 v[2:3], v[2:3], 0.5, -v[24:25]
	v_fmac_f64_e32 v[12:13], v[22:23], v[10:11]
	v_fma_f64 v[8:9], -v[10:11], v[6:7], v[8:9]
	v_fma_f64 v[6:7], -v[22:23], v[10:11], v[2:3]
	ds_write2_b64 v123, v[12:13], v[30:31] offset0:68 offset1:69
	ds_write_b128 v4, v[6:9] offset:8160
	ds_read_b128 v[6:9], v123 offset:1088
	ds_read_b128 v[10:13], v4 offset:7616
	global_load_dwordx4 v[22:25], v[0:1], off offset:2720
	s_waitcnt lgkmcnt(0)
	v_add_f64 v[2:3], v[6:7], v[10:11]
	v_add_f64 v[6:7], v[6:7], -v[10:11]
	v_add_f64 v[30:31], v[8:9], v[12:13]
	v_add_f64 v[8:9], v[8:9], -v[12:13]
	v_mul_f64 v[6:7], v[6:7], 0.5
	v_mul_f64 v[10:11], v[30:31], 0.5
	v_mul_f64 v[8:9], v[8:9], 0.5
	s_waitcnt vmcnt(3)
	v_mul_f64 v[12:13], v[6:7], v[16:17]
	v_fma_f64 v[30:31], v[10:11], v[16:17], v[8:9]
	v_fma_f64 v[8:9], v[10:11], v[16:17], -v[8:9]
	v_fma_f64 v[16:17], 0.5, v[2:3], v[12:13]
	v_fma_f64 v[30:31], -v[14:15], v[6:7], v[30:31]
	v_fma_f64 v[2:3], v[2:3], 0.5, -v[12:13]
	v_fmac_f64_e32 v[16:17], v[10:11], v[14:15]
	v_fma_f64 v[8:9], -v[14:15], v[6:7], v[8:9]
	v_fma_f64 v[6:7], -v[10:11], v[14:15], v[2:3]
	ds_write2_b64 v123, v[16:17], v[30:31] offset0:136 offset1:137
	ds_write_b128 v4, v[6:9] offset:7616
	ds_read_b128 v[6:9], v123 offset:1632
	ds_read_b128 v[10:13], v4 offset:7072
	global_load_dwordx4 v[14:17], v[0:1], off offset:3264
	;; [unrolled: 23-line block ×3, first 2 shown]
	s_waitcnt lgkmcnt(0)
	v_add_f64 v[18:19], v[6:7], v[10:11]
	v_add_f64 v[6:7], v[6:7], -v[10:11]
	v_add_f64 v[20:21], v[8:9], v[12:13]
	v_add_f64 v[8:9], v[8:9], -v[12:13]
	v_mul_f64 v[6:7], v[6:7], 0.5
	v_mul_f64 v[10:11], v[20:21], 0.5
	v_mul_f64 v[8:9], v[8:9], 0.5
	s_waitcnt vmcnt(3)
	v_mul_f64 v[12:13], v[6:7], v[28:29]
	v_fma_f64 v[20:21], v[10:11], v[28:29], v[8:9]
	v_fma_f64 v[8:9], v[10:11], v[28:29], -v[8:9]
	v_fma_f64 v[28:29], 0.5, v[18:19], v[12:13]
	v_fma_f64 v[20:21], -v[26:27], v[6:7], v[20:21]
	v_fma_f64 v[12:13], v[18:19], 0.5, -v[12:13]
	v_fmac_f64_e32 v[28:29], v[10:11], v[26:27]
	v_fma_f64 v[8:9], -v[26:27], v[6:7], v[8:9]
	v_fma_f64 v[6:7], -v[10:11], v[26:27], v[12:13]
	ds_write2_b64 v5, v[28:29], v[20:21] offset0:16 offset1:17
	ds_write_b128 v4, v[6:9] offset:6528
	ds_read_b128 v[6:9], v123 offset:2720
	ds_read_b128 v[10:13], v4 offset:5984
	s_waitcnt lgkmcnt(0)
	v_add_f64 v[18:19], v[6:7], v[10:11]
	v_add_f64 v[6:7], v[6:7], -v[10:11]
	v_add_f64 v[20:21], v[8:9], v[12:13]
	v_add_f64 v[8:9], v[8:9], -v[12:13]
	v_mul_f64 v[6:7], v[6:7], 0.5
	v_mul_f64 v[10:11], v[20:21], 0.5
	v_mul_f64 v[8:9], v[8:9], 0.5
	s_waitcnt vmcnt(2)
	v_mul_f64 v[12:13], v[6:7], v[24:25]
	v_fma_f64 v[20:21], v[10:11], v[24:25], v[8:9]
	v_fma_f64 v[8:9], v[10:11], v[24:25], -v[8:9]
	v_fma_f64 v[24:25], 0.5, v[18:19], v[12:13]
	v_fma_f64 v[20:21], -v[22:23], v[6:7], v[20:21]
	v_fma_f64 v[12:13], v[18:19], 0.5, -v[12:13]
	v_fmac_f64_e32 v[24:25], v[10:11], v[22:23]
	v_fma_f64 v[8:9], -v[22:23], v[6:7], v[8:9]
	v_fma_f64 v[6:7], -v[10:11], v[22:23], v[12:13]
	ds_write2_b64 v5, v[24:25], v[20:21] offset0:84 offset1:85
	ds_write_b128 v4, v[6:9] offset:5984
	ds_read_b128 v[6:9], v123 offset:3264
	ds_read_b128 v[10:13], v4 offset:5440
	;; [unrolled: 22-line block ×3, first 2 shown]
	s_waitcnt lgkmcnt(0)
	v_add_f64 v[14:15], v[6:7], v[10:11]
	v_add_f64 v[6:7], v[6:7], -v[10:11]
	v_add_f64 v[16:17], v[8:9], v[12:13]
	v_add_f64 v[8:9], v[8:9], -v[12:13]
	v_mul_f64 v[6:7], v[6:7], 0.5
	v_mul_f64 v[10:11], v[16:17], 0.5
	;; [unrolled: 1-line block ×3, first 2 shown]
	s_waitcnt vmcnt(0)
	v_mul_f64 v[12:13], v[6:7], v[2:3]
	v_fma_f64 v[16:17], v[10:11], v[2:3], v[8:9]
	v_fma_f64 v[2:3], v[10:11], v[2:3], -v[8:9]
	v_fma_f64 v[8:9], 0.5, v[14:15], v[12:13]
	v_fma_f64 v[16:17], -v[0:1], v[6:7], v[16:17]
	v_fma_f64 v[12:13], v[14:15], 0.5, -v[12:13]
	v_fmac_f64_e32 v[8:9], v[10:11], v[0:1]
	v_fma_f64 v[2:3], -v[0:1], v[6:7], v[2:3]
	v_fma_f64 v[0:1], -v[10:11], v[0:1], v[12:13]
	ds_write2_b64 v5, v[8:9], v[16:17] offset0:220 offset1:221
	ds_write_b128 v4, v[0:3] offset:4896
	s_waitcnt lgkmcnt(0)
	s_barrier
	s_and_saveexec_b64 s[0:1], vcc
	s_cbranch_execz .LBB0_21
; %bb.19:
	v_mul_lo_u32 v2, s3, v72
	v_mul_lo_u32 v3, s2, v73
	v_mad_u64_u32 v[0:1], s[0:1], s2, v72, 0
	v_add3_u32 v1, v1, v3, v2
	v_lshl_add_u32 v2, v70, 4, v122
	ds_read_b128 v[4:7], v2
	ds_read_b128 v[8:11], v2 offset:544
	v_lshl_add_u64 v[0:1], v[0:1], 4, s[6:7]
	v_mov_b32_e32 v71, 0
	v_lshl_add_u64 v[0:1], v[68:69], 4, v[0:1]
	v_lshl_add_u64 v[12:13], v[70:71], 4, v[0:1]
	s_waitcnt lgkmcnt(1)
	global_store_dwordx4 v[12:13], v[4:7], off
	v_cmp_eq_u32_e32 vcc, 33, v70
	s_nop 0
	v_add_u32_e32 v4, 34, v70
	v_mov_b32_e32 v5, v71
	v_lshl_add_u64 v[4:5], v[4:5], 4, v[0:1]
	s_waitcnt lgkmcnt(0)
	global_store_dwordx4 v[4:5], v[8:11], off
	ds_read_b128 v[4:7], v2 offset:1088
	s_nop 0
	v_add_u32_e32 v8, 0x44, v70
	v_mov_b32_e32 v9, v71
	v_lshl_add_u64 v[12:13], v[8:9], 4, v[0:1]
	ds_read_b128 v[8:11], v2 offset:1632
	s_waitcnt lgkmcnt(1)
	global_store_dwordx4 v[12:13], v[4:7], off
	s_nop 1
	v_add_u32_e32 v4, 0x66, v70
	v_mov_b32_e32 v5, v71
	v_lshl_add_u64 v[4:5], v[4:5], 4, v[0:1]
	s_waitcnt lgkmcnt(0)
	global_store_dwordx4 v[4:5], v[8:11], off
	ds_read_b128 v[4:7], v2 offset:2176
	s_nop 0
	v_add_u32_e32 v8, 0x88, v70
	v_mov_b32_e32 v9, v71
	v_lshl_add_u64 v[12:13], v[8:9], 4, v[0:1]
	ds_read_b128 v[8:11], v2 offset:2720
	s_waitcnt lgkmcnt(1)
	global_store_dwordx4 v[12:13], v[4:7], off
	;; [unrolled: 14-line block ×7, first 2 shown]
	s_nop 1
	v_add_u32_e32 v4, 0x1fe, v70
	v_mov_b32_e32 v5, v71
	v_lshl_add_u64 v[4:5], v[4:5], 4, v[0:1]
	s_waitcnt lgkmcnt(0)
	global_store_dwordx4 v[4:5], v[8:11], off
	s_and_b64 exec, exec, vcc
	s_cbranch_execz .LBB0_21
; %bb.20:
	ds_read_b128 v[2:5], v2 offset:8176
	v_add_co_u32_e32 v0, vcc, 0x2000, v0
	s_nop 1
	v_addc_co_u32_e32 v1, vcc, 0, v1, vcc
	s_waitcnt lgkmcnt(0)
	global_store_dwordx4 v[0:1], v[2:5], off offset:512
.LBB0_21:
	s_endpgm
	.section	.rodata,"a",@progbits
	.p2align	6, 0x0
	.amdhsa_kernel fft_rtc_fwd_len544_factors_17_2_16_wgs_102_tpt_34_halfLds_dp_op_CI_CI_unitstride_sbrr_R2C_dirReg
		.amdhsa_group_segment_fixed_size 0
		.amdhsa_private_segment_fixed_size 0
		.amdhsa_kernarg_size 104
		.amdhsa_user_sgpr_count 2
		.amdhsa_user_sgpr_dispatch_ptr 0
		.amdhsa_user_sgpr_queue_ptr 0
		.amdhsa_user_sgpr_kernarg_segment_ptr 1
		.amdhsa_user_sgpr_dispatch_id 0
		.amdhsa_user_sgpr_kernarg_preload_length 0
		.amdhsa_user_sgpr_kernarg_preload_offset 0
		.amdhsa_user_sgpr_private_segment_size 0
		.amdhsa_uses_dynamic_stack 0
		.amdhsa_enable_private_segment 0
		.amdhsa_system_sgpr_workgroup_id_x 1
		.amdhsa_system_sgpr_workgroup_id_y 0
		.amdhsa_system_sgpr_workgroup_id_z 0
		.amdhsa_system_sgpr_workgroup_info 0
		.amdhsa_system_vgpr_workitem_id 0
		.amdhsa_next_free_vgpr 168
		.amdhsa_next_free_sgpr 58
		.amdhsa_accum_offset 168
		.amdhsa_reserve_vcc 1
		.amdhsa_float_round_mode_32 0
		.amdhsa_float_round_mode_16_64 0
		.amdhsa_float_denorm_mode_32 3
		.amdhsa_float_denorm_mode_16_64 3
		.amdhsa_dx10_clamp 1
		.amdhsa_ieee_mode 1
		.amdhsa_fp16_overflow 0
		.amdhsa_tg_split 0
		.amdhsa_exception_fp_ieee_invalid_op 0
		.amdhsa_exception_fp_denorm_src 0
		.amdhsa_exception_fp_ieee_div_zero 0
		.amdhsa_exception_fp_ieee_overflow 0
		.amdhsa_exception_fp_ieee_underflow 0
		.amdhsa_exception_fp_ieee_inexact 0
		.amdhsa_exception_int_div_zero 0
	.end_amdhsa_kernel
	.text
.Lfunc_end0:
	.size	fft_rtc_fwd_len544_factors_17_2_16_wgs_102_tpt_34_halfLds_dp_op_CI_CI_unitstride_sbrr_R2C_dirReg, .Lfunc_end0-fft_rtc_fwd_len544_factors_17_2_16_wgs_102_tpt_34_halfLds_dp_op_CI_CI_unitstride_sbrr_R2C_dirReg
                                        ; -- End function
	.section	.AMDGPU.csdata,"",@progbits
; Kernel info:
; codeLenInByte = 13564
; NumSgprs: 64
; NumVgprs: 168
; NumAgprs: 0
; TotalNumVgprs: 168
; ScratchSize: 0
; MemoryBound: 0
; FloatMode: 240
; IeeeMode: 1
; LDSByteSize: 0 bytes/workgroup (compile time only)
; SGPRBlocks: 7
; VGPRBlocks: 20
; NumSGPRsForWavesPerEU: 64
; NumVGPRsForWavesPerEU: 168
; AccumOffset: 168
; Occupancy: 3
; WaveLimiterHint : 1
; COMPUTE_PGM_RSRC2:SCRATCH_EN: 0
; COMPUTE_PGM_RSRC2:USER_SGPR: 2
; COMPUTE_PGM_RSRC2:TRAP_HANDLER: 0
; COMPUTE_PGM_RSRC2:TGID_X_EN: 1
; COMPUTE_PGM_RSRC2:TGID_Y_EN: 0
; COMPUTE_PGM_RSRC2:TGID_Z_EN: 0
; COMPUTE_PGM_RSRC2:TIDIG_COMP_CNT: 0
; COMPUTE_PGM_RSRC3_GFX90A:ACCUM_OFFSET: 41
; COMPUTE_PGM_RSRC3_GFX90A:TG_SPLIT: 0
	.text
	.p2alignl 6, 3212836864
	.fill 256, 4, 3212836864
	.type	__hip_cuid_773589d02ecacbda,@object ; @__hip_cuid_773589d02ecacbda
	.section	.bss,"aw",@nobits
	.globl	__hip_cuid_773589d02ecacbda
__hip_cuid_773589d02ecacbda:
	.byte	0                               ; 0x0
	.size	__hip_cuid_773589d02ecacbda, 1

	.ident	"AMD clang version 19.0.0git (https://github.com/RadeonOpenCompute/llvm-project roc-6.4.0 25133 c7fe45cf4b819c5991fe208aaa96edf142730f1d)"
	.section	".note.GNU-stack","",@progbits
	.addrsig
	.addrsig_sym __hip_cuid_773589d02ecacbda
	.amdgpu_metadata
---
amdhsa.kernels:
  - .agpr_count:     0
    .args:
      - .actual_access:  read_only
        .address_space:  global
        .offset:         0
        .size:           8
        .value_kind:     global_buffer
      - .offset:         8
        .size:           8
        .value_kind:     by_value
      - .actual_access:  read_only
        .address_space:  global
        .offset:         16
        .size:           8
        .value_kind:     global_buffer
      - .actual_access:  read_only
        .address_space:  global
        .offset:         24
        .size:           8
        .value_kind:     global_buffer
      - .actual_access:  read_only
        .address_space:  global
        .offset:         32
        .size:           8
        .value_kind:     global_buffer
      - .offset:         40
        .size:           8
        .value_kind:     by_value
      - .actual_access:  read_only
        .address_space:  global
        .offset:         48
        .size:           8
        .value_kind:     global_buffer
      - .actual_access:  read_only
        .address_space:  global
        .offset:         56
        .size:           8
        .value_kind:     global_buffer
      - .offset:         64
        .size:           4
        .value_kind:     by_value
      - .actual_access:  read_only
        .address_space:  global
        .offset:         72
        .size:           8
        .value_kind:     global_buffer
      - .actual_access:  read_only
        .address_space:  global
        .offset:         80
        .size:           8
        .value_kind:     global_buffer
      - .actual_access:  read_only
        .address_space:  global
        .offset:         88
        .size:           8
        .value_kind:     global_buffer
      - .actual_access:  write_only
        .address_space:  global
        .offset:         96
        .size:           8
        .value_kind:     global_buffer
    .group_segment_fixed_size: 0
    .kernarg_segment_align: 8
    .kernarg_segment_size: 104
    .language:       OpenCL C
    .language_version:
      - 2
      - 0
    .max_flat_workgroup_size: 102
    .name:           fft_rtc_fwd_len544_factors_17_2_16_wgs_102_tpt_34_halfLds_dp_op_CI_CI_unitstride_sbrr_R2C_dirReg
    .private_segment_fixed_size: 0
    .sgpr_count:     64
    .sgpr_spill_count: 0
    .symbol:         fft_rtc_fwd_len544_factors_17_2_16_wgs_102_tpt_34_halfLds_dp_op_CI_CI_unitstride_sbrr_R2C_dirReg.kd
    .uniform_work_group_size: 1
    .uses_dynamic_stack: false
    .vgpr_count:     168
    .vgpr_spill_count: 0
    .wavefront_size: 64
amdhsa.target:   amdgcn-amd-amdhsa--gfx950
amdhsa.version:
  - 1
  - 2
...

	.end_amdgpu_metadata
